;; amdgpu-corpus repo=ROCm/rocFFT kind=compiled arch=gfx906 opt=O3
	.text
	.amdgcn_target "amdgcn-amd-amdhsa--gfx906"
	.amdhsa_code_object_version 6
	.protected	bluestein_single_back_len442_dim1_half_op_CI_CI ; -- Begin function bluestein_single_back_len442_dim1_half_op_CI_CI
	.globl	bluestein_single_back_len442_dim1_half_op_CI_CI
	.p2align	8
	.type	bluestein_single_back_len442_dim1_half_op_CI_CI,@function
bluestein_single_back_len442_dim1_half_op_CI_CI: ; @bluestein_single_back_len442_dim1_half_op_CI_CI
; %bb.0:
	v_mul_u32_u24_e32 v1, 0x788, v0
	s_load_dwordx4 s[0:3], s[4:5], 0x28
	v_lshrrev_b32_e32 v1, 16, v1
	v_mad_u64_u32 v[12:13], s[6:7], s6, 7, v[1:2]
	v_mov_b32_e32 v13, 0
	s_waitcnt lgkmcnt(0)
	v_cmp_gt_u64_e32 vcc, s[0:1], v[12:13]
	s_and_saveexec_b64 s[0:1], vcc
	s_cbranch_execz .LBB0_23
; %bb.1:
	s_mov_b32 s0, 0x24924925
	v_mul_hi_u32 v2, v12, s0
	s_load_dwordx2 s[6:7], s[4:5], 0x0
	s_load_dwordx2 s[12:13], s[4:5], 0x38
	v_mul_lo_u16_e32 v1, 34, v1
	v_sub_u16_e32 v29, v0, v1
	v_sub_u32_e32 v3, v12, v2
	v_lshrrev_b32_e32 v3, 1, v3
	v_add_u32_e32 v2, v3, v2
	v_lshrrev_b32_e32 v2, 2, v2
	v_mul_lo_u32 v2, v2, 7
	v_cmp_gt_u16_e32 vcc, 26, v29
	v_lshlrev_b32_e32 v30, 2, v29
	v_sub_u32_e32 v0, v12, v2
	v_mul_u32_u24_e32 v21, 0x1ba, v0
	v_lshlrev_b32_e32 v31, 2, v21
	s_and_saveexec_b64 s[14:15], vcc
	s_cbranch_execz .LBB0_3
; %bb.2:
	s_load_dwordx2 s[0:1], s[4:5], 0x18
	v_lshl_add_u32 v15, v29, 2, v31
	v_add_u32_e32 v16, v31, v30
	s_waitcnt lgkmcnt(0)
	s_load_dwordx4 s[8:11], s[0:1], 0x0
	s_waitcnt lgkmcnt(0)
	v_mad_u64_u32 v[0:1], s[0:1], s10, v12, 0
	v_mad_u64_u32 v[2:3], s[0:1], s8, v29, 0
	;; [unrolled: 1-line block ×4, first 2 shown]
	v_mov_b32_e32 v1, v4
	v_lshlrev_b64 v[0:1], 2, v[0:1]
	v_mov_b32_e32 v3, v5
	v_mov_b32_e32 v6, s3
	v_lshlrev_b64 v[2:3], 2, v[2:3]
	v_add_co_u32_e64 v5, s[0:1], s2, v0
	v_addc_co_u32_e64 v6, s[0:1], v6, v1, s[0:1]
	v_add_co_u32_e64 v0, s[0:1], v5, v2
	v_addc_co_u32_e64 v1, s[0:1], v6, v3, s[0:1]
	s_mul_i32 s0, s9, 0x68
	s_mul_hi_u32 s3, s8, 0x68
	s_add_i32 s3, s3, s0
	s_mul_i32 s2, s8, 0x68
	v_mov_b32_e32 v3, s3
	v_add_co_u32_e64 v2, s[0:1], s2, v0
	v_addc_co_u32_e64 v3, s[0:1], v1, v3, s[0:1]
	global_load_dword v4, v[0:1], off
	global_load_dword v7, v[2:3], off
	global_load_dword v8, v30, s[6:7]
	global_load_dword v9, v30, s[6:7] offset:104
	v_mov_b32_e32 v1, s3
	v_add_co_u32_e64 v0, s[0:1], s2, v2
	v_addc_co_u32_e64 v1, s[0:1], v3, v1, s[0:1]
	global_load_dword v2, v[0:1], off
	global_load_dword v3, v30, s[6:7] offset:208
	v_mov_b32_e32 v10, s3
	v_add_co_u32_e64 v0, s[0:1], s2, v0
	v_addc_co_u32_e64 v1, s[0:1], v1, v10, s[0:1]
	global_load_dword v10, v[0:1], off
	;; [unrolled: 5-line block ×3, first 2 shown]
	global_load_dword v14, v30, s[6:7] offset:416
	v_mov_b32_e32 v20, s3
	v_add_co_u32_e64 v0, s[0:1], s2, v0
	v_addc_co_u32_e64 v1, s[0:1], v1, v20, s[0:1]
	global_load_dword v17, v30, s[6:7] offset:520
	global_load_dword v18, v30, s[6:7] offset:624
	;; [unrolled: 1-line block ×3, first 2 shown]
	global_load_dword v20, v[0:1], off
	v_mov_b32_e32 v22, s3
	v_add_co_u32_e64 v0, s[0:1], s2, v0
	v_addc_co_u32_e64 v1, s[0:1], v1, v22, s[0:1]
	global_load_dword v22, v[0:1], off
	v_mov_b32_e32 v23, s3
	v_add_co_u32_e64 v0, s[0:1], s2, v0
	v_addc_co_u32_e64 v1, s[0:1], v1, v23, s[0:1]
	;; [unrolled: 4-line block ×3, first 2 shown]
	v_mov_b32_e32 v38, s3
	s_waitcnt vmcnt(15)
	v_lshrrev_b32_e32 v25, 16, v4
	s_waitcnt vmcnt(13)
	v_mul_f16_sdwa v26, v8, v4 dst_sel:DWORD dst_unused:UNUSED_PAD src0_sel:WORD_1 src1_sel:DWORD
	v_mul_f16_sdwa v27, v8, v25 dst_sel:DWORD dst_unused:UNUSED_PAD src0_sel:WORD_1 src1_sel:DWORD
	v_fma_f16 v25, v8, v25, -v26
	v_lshrrev_b32_e32 v26, 16, v7
	s_waitcnt vmcnt(12)
	v_mul_f16_sdwa v28, v9, v7 dst_sel:DWORD dst_unused:UNUSED_PAD src0_sel:WORD_1 src1_sel:DWORD
	v_fma_f16 v4, v8, v4, v27
	v_mul_f16_sdwa v8, v9, v26 dst_sel:DWORD dst_unused:UNUSED_PAD src0_sel:WORD_1 src1_sel:DWORD
	s_waitcnt vmcnt(11)
	v_lshrrev_b32_e32 v27, 16, v2
	v_fma_f16 v26, v9, v26, -v28
	s_waitcnt vmcnt(10)
	v_mul_f16_sdwa v28, v3, v2 dst_sel:DWORD dst_unused:UNUSED_PAD src0_sel:WORD_1 src1_sel:DWORD
	v_fma_f16 v7, v9, v7, v8
	v_mul_f16_sdwa v8, v3, v27 dst_sel:DWORD dst_unused:UNUSED_PAD src0_sel:WORD_1 src1_sel:DWORD
	v_pack_b32_f16 v4, v4, v25
	v_fma_f16 v9, v3, v27, -v28
	v_fma_f16 v2, v3, v2, v8
	s_waitcnt vmcnt(9)
	v_lshrrev_b32_e32 v25, 16, v10
	ds_write_b32 v15, v4
	v_pack_b32_f16 v4, v7, v26
	v_pack_b32_f16 v2, v2, v9
	s_waitcnt vmcnt(8)
	v_mul_f16_sdwa v27, v11, v10 dst_sel:DWORD dst_unused:UNUSED_PAD src0_sel:WORD_1 src1_sel:DWORD
	v_mul_f16_sdwa v3, v11, v25 dst_sel:DWORD dst_unused:UNUSED_PAD src0_sel:WORD_1 src1_sel:DWORD
	ds_write2_b32 v16, v4, v2 offset0:26 offset1:52
	v_fma_f16 v7, v11, v25, -v27
	v_fma_f16 v3, v11, v10, v3
	global_load_dword v10, v[0:1], off
	global_load_dword v11, v30, s[6:7] offset:832
	v_mov_b32_e32 v2, s3
	v_add_co_u32_e64 v0, s[0:1], s2, v0
	v_addc_co_u32_e64 v1, s[0:1], v1, v2, s[0:1]
	global_load_dword v15, v[0:1], off
	v_add_co_u32_e64 v0, s[0:1], s2, v0
	v_addc_co_u32_e64 v1, s[0:1], v1, v2, s[0:1]
	global_load_dword v24, v[0:1], off
	global_load_dword v25, v30, s[6:7] offset:936
	global_load_dword v26, v30, s[6:7] offset:1040
	v_add_co_u32_e64 v0, s[0:1], s2, v0
	v_addc_co_u32_e64 v1, s[0:1], v1, v2, s[0:1]
	global_load_dword v27, v[0:1], off
	v_add_co_u32_e64 v0, s[0:1], s2, v0
	v_addc_co_u32_e64 v1, s[0:1], v1, v2, s[0:1]
	global_load_dword v28, v[0:1], off
	global_load_dword v32, v30, s[6:7] offset:1144
	global_load_dword v33, v30, s[6:7] offset:1248
	v_add_co_u32_e64 v0, s[0:1], s2, v0
	v_addc_co_u32_e64 v1, s[0:1], v1, v2, s[0:1]
	global_load_dword v34, v[0:1], off
	v_add_co_u32_e64 v0, s[0:1], s2, v0
	v_or_b32_e32 v4, 0x1a0, v29
	v_pack_b32_f16 v7, v3, v7
	v_addc_co_u32_e64 v1, s[0:1], v1, v2, s[0:1]
	v_mad_u64_u32 v[2:3], s[0:1], s8, v4, 0
	global_load_dword v35, v[0:1], off
	global_load_dword v36, v30, s[6:7] offset:1352
	global_load_dword v37, v30, s[6:7] offset:1456
	v_mad_u64_u32 v[3:4], s[0:1], s9, v4, v[3:4]
	v_add_co_u32_e64 v0, s[0:1], s2, v0
	v_addc_co_u32_e64 v1, s[0:1], v1, v38, s[0:1]
	global_load_dword v4, v[0:1], off
	global_load_dword v38, v30, s[6:7] offset:1560
	v_lshlrev_b64 v[0:1], 2, v[2:3]
	s_waitcnt vmcnt(23)
	v_lshrrev_b32_e32 v8, 16, v13
	v_add_co_u32_e64 v0, s[0:1], v5, v0
	v_addc_co_u32_e64 v1, s[0:1], v6, v1, s[0:1]
	global_load_dword v2, v[0:1], off
	global_load_dword v3, v30, s[6:7] offset:1664
	s_waitcnt vmcnt(24)
	v_mul_f16_sdwa v9, v14, v8 dst_sel:DWORD dst_unused:UNUSED_PAD src0_sel:WORD_1 src1_sel:DWORD
	v_mul_f16_sdwa v1, v14, v13 dst_sel:DWORD dst_unused:UNUSED_PAD src0_sel:WORD_1 src1_sel:DWORD
	v_fma_f16 v0, v14, v13, v9
	v_fma_f16 v1, v14, v8, -v1
	v_pack_b32_f16 v0, v0, v1
	ds_write2_b32 v16, v7, v0 offset0:78 offset1:104
	s_waitcnt vmcnt(20)
	v_lshrrev_b32_e32 v0, 16, v20
	v_mul_f16_sdwa v1, v17, v0 dst_sel:DWORD dst_unused:UNUSED_PAD src0_sel:WORD_1 src1_sel:DWORD
	v_mul_f16_sdwa v5, v17, v20 dst_sel:DWORD dst_unused:UNUSED_PAD src0_sel:WORD_1 src1_sel:DWORD
	v_fma_f16 v1, v17, v20, v1
	v_fma_f16 v0, v17, v0, -v5
	v_pack_b32_f16 v0, v1, v0
	s_waitcnt vmcnt(19)
	v_lshrrev_b32_e32 v1, 16, v22
	v_mul_f16_sdwa v5, v18, v1 dst_sel:DWORD dst_unused:UNUSED_PAD src0_sel:WORD_1 src1_sel:DWORD
	v_mul_f16_sdwa v6, v18, v22 dst_sel:DWORD dst_unused:UNUSED_PAD src0_sel:WORD_1 src1_sel:DWORD
	v_fma_f16 v5, v18, v22, v5
	v_fma_f16 v1, v18, v1, -v6
	v_pack_b32_f16 v1, v5, v1
	ds_write2_b32 v16, v0, v1 offset0:130 offset1:156
	s_waitcnt vmcnt(18)
	v_lshrrev_b32_e32 v0, 16, v23
	v_mul_f16_sdwa v1, v19, v0 dst_sel:DWORD dst_unused:UNUSED_PAD src0_sel:WORD_1 src1_sel:DWORD
	v_mul_f16_sdwa v5, v19, v23 dst_sel:DWORD dst_unused:UNUSED_PAD src0_sel:WORD_1 src1_sel:DWORD
	v_fma_f16 v1, v19, v23, v1
	v_fma_f16 v0, v19, v0, -v5
	v_pack_b32_f16 v0, v1, v0
	s_waitcnt vmcnt(17)
	v_lshrrev_b32_e32 v1, 16, v10
	s_waitcnt vmcnt(16)
	v_mul_f16_sdwa v5, v11, v1 dst_sel:DWORD dst_unused:UNUSED_PAD src0_sel:WORD_1 src1_sel:DWORD
	v_mul_f16_sdwa v6, v11, v10 dst_sel:DWORD dst_unused:UNUSED_PAD src0_sel:WORD_1 src1_sel:DWORD
	v_fma_f16 v5, v11, v10, v5
	v_fma_f16 v1, v11, v1, -v6
	v_pack_b32_f16 v1, v5, v1
	ds_write2_b32 v16, v0, v1 offset0:182 offset1:208
	s_waitcnt vmcnt(15)
	v_lshrrev_b32_e32 v0, 16, v15
	s_waitcnt vmcnt(13)
	v_mul_f16_sdwa v1, v25, v0 dst_sel:DWORD dst_unused:UNUSED_PAD src0_sel:WORD_1 src1_sel:DWORD
	v_mul_f16_sdwa v5, v25, v15 dst_sel:DWORD dst_unused:UNUSED_PAD src0_sel:WORD_1 src1_sel:DWORD
	v_fma_f16 v1, v25, v15, v1
	v_fma_f16 v0, v25, v0, -v5
	v_pack_b32_f16 v0, v1, v0
	v_lshrrev_b32_e32 v1, 16, v24
	s_waitcnt vmcnt(12)
	v_mul_f16_sdwa v5, v26, v1 dst_sel:DWORD dst_unused:UNUSED_PAD src0_sel:WORD_1 src1_sel:DWORD
	v_mul_f16_sdwa v6, v26, v24 dst_sel:DWORD dst_unused:UNUSED_PAD src0_sel:WORD_1 src1_sel:DWORD
	v_fma_f16 v5, v26, v24, v5
	v_fma_f16 v1, v26, v1, -v6
	v_pack_b32_f16 v1, v5, v1
	v_add_u32_e32 v5, 0x200, v16
	ds_write2_b32 v5, v0, v1 offset0:106 offset1:132
	s_waitcnt vmcnt(11)
	v_lshrrev_b32_e32 v0, 16, v27
	s_waitcnt vmcnt(9)
	v_mul_f16_sdwa v1, v32, v0 dst_sel:DWORD dst_unused:UNUSED_PAD src0_sel:WORD_1 src1_sel:DWORD
	v_mul_f16_sdwa v5, v32, v27 dst_sel:DWORD dst_unused:UNUSED_PAD src0_sel:WORD_1 src1_sel:DWORD
	v_fma_f16 v1, v32, v27, v1
	v_fma_f16 v0, v32, v0, -v5
	v_pack_b32_f16 v0, v1, v0
	v_lshrrev_b32_e32 v1, 16, v28
	s_waitcnt vmcnt(8)
	v_mul_f16_sdwa v5, v33, v1 dst_sel:DWORD dst_unused:UNUSED_PAD src0_sel:WORD_1 src1_sel:DWORD
	v_mul_f16_sdwa v6, v33, v28 dst_sel:DWORD dst_unused:UNUSED_PAD src0_sel:WORD_1 src1_sel:DWORD
	v_fma_f16 v5, v33, v28, v5
	v_fma_f16 v1, v33, v1, -v6
	v_pack_b32_f16 v1, v5, v1
	v_add_u32_e32 v5, 0x400, v16
	ds_write2_b32 v5, v0, v1 offset0:30 offset1:56
	s_waitcnt vmcnt(7)
	v_lshrrev_b32_e32 v0, 16, v34
	s_waitcnt vmcnt(5)
	v_mul_f16_sdwa v1, v36, v0 dst_sel:DWORD dst_unused:UNUSED_PAD src0_sel:WORD_1 src1_sel:DWORD
	v_mul_f16_sdwa v6, v36, v34 dst_sel:DWORD dst_unused:UNUSED_PAD src0_sel:WORD_1 src1_sel:DWORD
	v_fma_f16 v1, v36, v34, v1
	v_fma_f16 v0, v36, v0, -v6
	v_pack_b32_f16 v0, v1, v0
	v_lshrrev_b32_e32 v1, 16, v35
	s_waitcnt vmcnt(4)
	v_mul_f16_sdwa v6, v37, v1 dst_sel:DWORD dst_unused:UNUSED_PAD src0_sel:WORD_1 src1_sel:DWORD
	v_mul_f16_sdwa v7, v37, v35 dst_sel:DWORD dst_unused:UNUSED_PAD src0_sel:WORD_1 src1_sel:DWORD
	v_fma_f16 v6, v37, v35, v6
	v_fma_f16 v1, v37, v1, -v7
	v_pack_b32_f16 v1, v6, v1
	ds_write2_b32 v5, v0, v1 offset0:82 offset1:108
	s_waitcnt vmcnt(3)
	v_lshrrev_b32_e32 v0, 16, v4
	s_waitcnt vmcnt(2)
	v_mul_f16_sdwa v1, v38, v0 dst_sel:DWORD dst_unused:UNUSED_PAD src0_sel:WORD_1 src1_sel:DWORD
	v_fma_f16 v1, v38, v4, v1
	v_mul_f16_sdwa v4, v38, v4 dst_sel:DWORD dst_unused:UNUSED_PAD src0_sel:WORD_1 src1_sel:DWORD
	v_fma_f16 v0, v38, v0, -v4
	v_pack_b32_f16 v0, v1, v0
	s_waitcnt vmcnt(1)
	v_lshrrev_b32_e32 v1, 16, v2
	s_waitcnt vmcnt(0)
	v_mul_f16_sdwa v4, v3, v1 dst_sel:DWORD dst_unused:UNUSED_PAD src0_sel:WORD_1 src1_sel:DWORD
	v_fma_f16 v4, v3, v2, v4
	v_mul_f16_sdwa v2, v3, v2 dst_sel:DWORD dst_unused:UNUSED_PAD src0_sel:WORD_1 src1_sel:DWORD
	v_fma_f16 v1, v3, v1, -v2
	v_pack_b32_f16 v1, v4, v1
	ds_write2_b32 v5, v0, v1 offset0:134 offset1:160
.LBB0_3:
	s_or_b64 exec, exec, s[14:15]
	v_mov_b32_e32 v0, 0
	s_waitcnt lgkmcnt(0)
	s_barrier
	s_waitcnt lgkmcnt(0)
                                        ; implicit-def: $vgpr22
                                        ; implicit-def: $vgpr3
                                        ; implicit-def: $vgpr5
                                        ; implicit-def: $vgpr9
                                        ; implicit-def: $vgpr7
                                        ; implicit-def: $vgpr11
                                        ; implicit-def: $vgpr18
                                        ; implicit-def: $vgpr15
                                        ; implicit-def: $vgpr60
	s_and_saveexec_b64 s[0:1], vcc
	s_cbranch_execz .LBB0_5
; %bb.4:
	v_lshl_add_u32 v13, v21, 2, v30
	v_add_u32_e32 v2, 0x400, v13
	ds_read2_b32 v[0:1], v13 offset1:26
	ds_read2_b32 v[14:15], v13 offset0:52 offset1:78
	ds_read2_b32 v[17:18], v13 offset0:104 offset1:130
	;; [unrolled: 1-line block ×7, first 2 shown]
	ds_read_b32 v22, v13 offset:1664
	s_waitcnt lgkmcnt(7)
	v_alignbit_b32 v60, v14, v14, 16
.LBB0_5:
	s_or_b64 exec, exec, s[0:1]
	s_waitcnt lgkmcnt(0)
	v_pk_add_f16 v23, v1, v22 neg_lo:[0,1] neg_hi:[0,1]
	s_mov_b32 s25, 0xbbf7
	v_pk_add_f16 v24, v22, v1
	s_movk_i32 s14, 0x2de8
	v_mul_f16_sdwa v41, v23, s25 dst_sel:DWORD dst_unused:UNUSED_PAD src0_sel:WORD_1 src1_sel:DWORD
	s_mov_b32 s3, 0xbbb2
	v_pk_add_f16 v25, v3, v60 op_sel:[1,0] op_sel_hi:[0,1]
	v_pk_add_f16 v26, v60, v3 op_sel:[1,0] op_sel_hi:[0,1] neg_lo:[0,1] neg_hi:[0,1]
	s_mov_b32 s16, 0xb1e1
	v_fma_f16 v13, v24, s14, v41
	s_mov_b32 s15, 0xb461
	v_mul_f16_sdwa v44, v23, s3 dst_sel:DWORD dst_unused:UNUSED_PAD src0_sel:WORD_1 src1_sel:DWORD
	v_lshrrev_b32_e32 v50, 16, v25
	s_mov_b32 s17, 0xbbdd
	v_mul_f16_sdwa v43, v26, s16 dst_sel:DWORD dst_unused:UNUSED_PAD src0_sel:WORD_1 src1_sel:DWORD
	s_movk_i32 s28, 0x3836
	v_add_f16_e32 v13, v13, v0
	v_fma_f16 v14, v24, s15, v44
	v_fma_f16 v16, v50, s17, v43
	s_mov_b32 s18, 0xbacd
	v_mul_f16_sdwa v49, v26, s28 dst_sel:DWORD dst_unused:UNUSED_PAD src0_sel:WORD_1 src1_sel:DWORD
	v_pk_add_f16 v27, v15, v2 neg_lo:[0,1] neg_hi:[0,1]
	s_movk_i32 s27, 0x3bb2
	v_add_f16_e32 v14, v14, v0
	v_add_f16_e32 v13, v16, v13
	v_fma_f16 v16, v50, s18, v49
	v_pk_add_f16 v28, v2, v15
	v_mul_f16_sdwa v48, v27, s27 dst_sel:DWORD dst_unused:UNUSED_PAD src0_sel:WORD_1 src1_sel:DWORD
	s_movk_i32 s19, 0x3964
	s_movk_i32 s10, 0x39e9
	v_add_f16_e32 v14, v16, v14
	v_fma_f16 v16, v28, s15, v48
	v_mul_f16_sdwa v55, v27, s19 dst_sel:DWORD dst_unused:UNUSED_PAD src0_sel:WORD_1 src1_sel:DWORD
	v_pk_add_f16 v32, v17, v5 neg_lo:[0,1] neg_hi:[0,1]
	s_movk_i32 s20, 0x35c8
	s_movk_i32 s2, 0x3b76
	s_mov_b32 s26, 0xbb29
	v_add_f16_e32 v13, v16, v13
	v_fma_f16 v16, v28, s10, v55
	v_pk_add_f16 v37, v5, v17
	v_mul_f16_sdwa v54, v32, s20 dst_sel:DWORD dst_unused:UNUSED_PAD src0_sel:WORD_1 src1_sel:DWORD
	s_movk_i32 s11, 0x3722
	v_add_f16_e32 v14, v16, v14
	v_fma_f16 v16, v37, s2, v54
	v_mul_f16_sdwa v57, v32, s26 dst_sel:DWORD dst_unused:UNUSED_PAD src0_sel:WORD_1 src1_sel:DWORD
	v_pk_add_f16 v38, v18, v4 neg_lo:[0,1] neg_hi:[0,1]
	v_add_f16_e32 v13, v16, v13
	v_fma_f16 v16, v37, s11, v57
	v_pk_add_f16 v39, v4, v18
	v_mul_f16_sdwa v56, v38, s26 dst_sel:DWORD dst_unused:UNUSED_PAD src0_sel:WORD_1 src1_sel:DWORD
	v_add_f16_e32 v14, v16, v14
	v_fma_f16 v16, v39, s11, v56
	v_mul_f16_sdwa v59, v38, s16 dst_sel:DWORD dst_unused:UNUSED_PAD src0_sel:WORD_1 src1_sel:DWORD
	v_pk_add_f16 v40, v10, v9 neg_lo:[0,1] neg_hi:[0,1]
	s_mov_b32 s22, 0xb836
	v_add_f16_e32 v13, v16, v13
	v_fma_f16 v16, v39, s17, v59
	v_pk_add_f16 v42, v9, v10
	v_mul_f16_sdwa v58, v40, s22 dst_sel:DWORD dst_unused:UNUSED_PAD src0_sel:WORD_1 src1_sel:DWORD
	s_movk_i32 s21, 0x3bf7
	v_add_f16_e32 v14, v16, v14
	v_fma_f16 v16, v42, s18, v58
	v_mul_f16_sdwa v64, v40, s21 dst_sel:DWORD dst_unused:UNUSED_PAD src0_sel:WORD_1 src1_sel:DWORD
	s_movk_i32 s31, 0x3a62
	v_pk_add_f16 v45, v11, v8 neg_lo:[0,1] neg_hi:[0,1]
	v_add_f16_e32 v13, v16, v13
	v_fma_f16 v16, v42, s14, v64
	s_mov_b32 s23, 0xb8d2
	v_pk_add_f16 v47, v8, v11
	v_mul_f16_sdwa v62, v45, s31 dst_sel:DWORD dst_unused:UNUSED_PAD src0_sel:WORD_1 src1_sel:DWORD
	s_mov_b32 s29, 0xb5c8
	v_add_f16_e32 v14, v16, v14
	v_fma_f16 v16, v47, s23, v62
	v_mul_f16_sdwa v68, v45, s29 dst_sel:DWORD dst_unused:UNUSED_PAD src0_sel:WORD_1 src1_sel:DWORD
	v_pk_add_f16 v46, v6, v7 neg_lo:[0,1] neg_hi:[0,1]
	v_add_f16_e32 v13, v16, v13
	v_fma_f16 v16, v47, s2, v68
	s_mov_b32 s24, 0xba62
	v_pk_add_f16 v51, v7, v6
	v_mul_f16_sdwa v69, v46, s19 dst_sel:DWORD dst_unused:UNUSED_PAD src0_sel:WORD_1 src1_sel:DWORD
	v_add_f16_e32 v14, v16, v14
	v_fma_f16 v16, v51, s10, v69
	v_mul_f16_sdwa v80, v46, s24 dst_sel:DWORD dst_unused:UNUSED_PAD src0_sel:WORD_1 src1_sel:DWORD
	v_add_f16_e32 v20, v16, v13
	v_fma_f16 v13, v51, s23, v80
	v_mul_f16_sdwa v61, v23, s29 dst_sel:DWORD dst_unused:UNUSED_PAD src0_sel:WORD_1 src1_sel:DWORD
	s_mov_b32 s33, 0xb964
	v_add_f16_e32 v19, v13, v14
	v_fma_f16 v13, v24, s2, v61
	v_mul_f16_sdwa v63, v26, s33 dst_sel:DWORD dst_unused:UNUSED_PAD src0_sel:WORD_1 src1_sel:DWORD
	v_add_f16_e32 v13, v13, v0
	v_fma_f16 v14, v50, s10, v63
	v_lshrrev_b32_e32 v128, 16, v24
	v_mul_f16_e32 v65, 0xb964, v23
	v_add_f16_e32 v13, v14, v13
	v_fma_f16 v14, v128, s10, -v65
	v_mul_f16_e32 v66, 0xbbf7, v26
	v_add_f16_sdwa v14, v14, v0 dst_sel:DWORD dst_unused:UNUSED_PAD src0_sel:DWORD src1_sel:WORD_1
	v_fma_f16 v16, v25, s14, -v66
	v_mul_f16_sdwa v71, v23, s26 dst_sel:DWORD dst_unused:UNUSED_PAD src0_sel:WORD_1 src1_sel:DWORD
	v_add_f16_e32 v14, v16, v14
	v_fma_f16 v16, v24, s11, v71
	v_mul_f16_sdwa v72, v26, s24 dst_sel:DWORD dst_unused:UNUSED_PAD src0_sel:WORD_1 src1_sel:DWORD
	v_add_f16_e32 v16, v16, v0
	v_fma_f16 v33, v50, s23, v72
	v_mul_f16_e32 v75, 0xbb29, v23
	v_add_f16_e32 v16, v33, v16
	v_fma_f16 v33, v128, s11, -v75
	v_mul_f16_e32 v76, 0xba62, v26
	v_add_f16_sdwa v33, v33, v0 dst_sel:DWORD dst_unused:UNUSED_PAD src0_sel:DWORD src1_sel:WORD_1
	v_fma_f16 v34, v25, s23, -v76
	v_mul_f16_e32 v85, 0xbbf7, v23
	v_add_f16_e32 v33, v34, v33
	v_fma_f16 v34, v128, s14, -v85
	v_mul_f16_e32 v87, 0xb1e1, v26
	v_add_f16_sdwa v34, v34, v0 dst_sel:DWORD dst_unused:UNUSED_PAD src0_sel:DWORD src1_sel:WORD_1
	v_fma_f16 v35, v25, s17, -v87
	v_mul_f16_e32 v96, 0xbbb2, v23
	v_add_f16_e32 v34, v35, v34
	v_fma_f16 v35, v128, s15, -v96
	v_mul_f16_e32 v98, 0x3836, v26
	v_add_f16_sdwa v35, v35, v0 dst_sel:DWORD dst_unused:UNUSED_PAD src0_sel:DWORD src1_sel:WORD_1
	v_fma_f16 v36, v25, s18, -v98
	v_mul_f16_sdwa v67, v27, s26 dst_sel:DWORD dst_unused:UNUSED_PAD src0_sel:WORD_1 src1_sel:DWORD
	v_add_f16_e32 v35, v36, v35
	v_fma_f16 v36, v28, s11, v67
	v_lshrrev_b32_e32 v130, 16, v28
	v_mul_f16_e32 v73, 0xba62, v27
	s_movk_i32 s34, 0x31e1
	v_add_f16_e32 v13, v36, v13
	v_fma_f16 v36, v130, s23, -v73
	v_mul_f16_sdwa v78, v27, s34 dst_sel:DWORD dst_unused:UNUSED_PAD src0_sel:WORD_1 src1_sel:DWORD
	v_add_f16_e32 v14, v36, v14
	v_fma_f16 v36, v28, s17, v78
	v_mul_f16_e32 v83, 0x31e1, v27
	v_add_f16_e32 v16, v36, v16
	v_fma_f16 v36, v130, s17, -v83
	v_mul_f16_e32 v94, 0x3bb2, v27
	v_add_f16_e32 v33, v36, v33
	v_fma_f16 v36, v130, s15, -v94
	v_mul_f16_e32 v107, 0x3964, v27
	v_add_f16_e32 v34, v36, v34
	v_fma_f16 v36, v130, s10, -v107
	v_mul_f16_sdwa v70, v32, s25 dst_sel:DWORD dst_unused:UNUSED_PAD src0_sel:WORD_1 src1_sel:DWORD
	v_add_f16_e32 v35, v36, v35
	v_fma_f16 v36, v37, s14, v70
	v_lshrrev_b32_e32 v131, 16, v37
	v_mul_f16_e32 v77, 0xb1e1, v32
	v_add_f16_e32 v13, v36, v13
	v_fma_f16 v36, v131, s17, -v77
	v_mul_f16_sdwa v82, v32, s27 dst_sel:DWORD dst_unused:UNUSED_PAD src0_sel:WORD_1 src1_sel:DWORD
	v_add_f16_e32 v14, v36, v14
	v_fma_f16 v36, v37, s15, v82
	v_mul_f16_e32 v89, 0x3bb2, v32
	v_add_f16_e32 v16, v36, v16
	v_fma_f16 v36, v131, s15, -v89
	v_mul_f16_e32 v99, 0x35c8, v32
	v_add_f16_e32 v33, v36, v33
	v_fma_f16 v36, v131, s2, -v99
	v_mul_f16_e32 v112, 0xbb29, v32
	v_add_f16_e32 v34, v36, v34
	v_fma_f16 v36, v131, s11, -v112
	v_mul_f16_sdwa v74, v38, s3 dst_sel:DWORD dst_unused:UNUSED_PAD src0_sel:WORD_1 src1_sel:DWORD
	v_add_f16_e32 v35, v36, v35
	v_fma_f16 v36, v39, s15, v74
	v_lshrrev_b32_e32 v133, 16, v39
	v_mul_f16_e32 v81, 0x3836, v38
	;; [unrolled: 19-line block ×4, first 2 shown]
	v_add_f16_e32 v13, v36, v13
	v_fma_f16 v36, v135, s11, -v90
	v_mul_f16_sdwa v95, v45, s25 dst_sel:DWORD dst_unused:UNUSED_PAD src0_sel:WORD_1 src1_sel:DWORD
	v_add_f16_e32 v36, v36, v14
	v_fma_f16 v14, v47, s14, v95
	v_mul_f16_e32 v105, 0xbbf7, v45
	v_add_f16_e32 v16, v14, v16
	v_fma_f16 v14, v135, s14, -v105
	v_mul_f16_e32 v122, 0x3a62, v45
	v_add_f16_e32 v33, v14, v33
	v_fma_f16 v14, v135, s23, -v122
	;; [unrolled: 3-line block ×3, first 2 shown]
	v_lshrrev_b32_e32 v136, 16, v51
	v_mul_f16_e32 v125, 0xb836, v46
	v_add_f16_e32 v53, v14, v35
	s_mov_b32 s0, 0x3b7639e9
	v_fma_f16 v35, v136, s18, -v125
	v_mul_f16_e32 v129, 0x3964, v46
	s_mov_b32 s1, 0xb964b5c8
	s_mov_b32 s8, 0xbbf7b964
	v_pk_mul_f16 v114, v24, s0
	v_add_f16_e32 v35, v35, v33
	v_fma_f16 v33, v136, s10, -v129
	v_mul_f16_e32 v132, 0xba62, v46
	s_mov_b32 s30, 0x2de839e9
	s_mov_b32 s9, 0x3722b8d2
	v_mul_f16_sdwa v92, v46, s16 dst_sel:DWORD dst_unused:UNUSED_PAD src0_sel:WORD_1 src1_sel:DWORD
	v_pk_fma_f16 v100, v23, s1, v114 op_sel:[0,0,1] op_sel_hi:[1,1,0]
	v_pk_mul_f16 v115, v26, s8
	v_add_f16_e32 v52, v33, v52
	v_fma_f16 v33, v136, s23, -v132
	v_pk_fma_f16 v114, v23, s1, v114 op_sel:[0,0,1] op_sel_hi:[1,1,0] neg_lo:[1,0,0] neg_hi:[1,0,0]
	s_mov_b32 s35, 0xba62bb29
	s_mov_b32 s36, 0x2de8bbdd
	v_fma_f16 v14, v51, s17, v92
	v_pk_fma_f16 v101, v25, s30, v115
	v_pk_mul_f16 v116, v28, s9
	v_add_f16_e32 v53, v33, v53
	v_pk_fma_f16 v115, v25, s30, v115 neg_lo:[0,0,1] neg_hi:[0,0,1]
	v_add_f16_sdwa v33, v114, v0 dst_sel:DWORD dst_unused:UNUSED_PAD src0_sel:DWORD src1_sel:WORD_1
	s_mov_b32 s37, 0xb1e1bbf7
	s_mov_b32 s38, 0xb461bacd
	v_add_f16_e32 v14, v14, v13
	v_add_f16_sdwa v13, v100, v0 dst_sel:DWORD dst_unused:UNUSED_PAD src0_sel:WORD_1 src1_sel:DWORD
	v_pk_fma_f16 v102, v27, s35, v116 op_sel:[0,0,1] op_sel_hi:[1,1,0]
	v_pk_mul_f16 v117, v37, s36
	v_pk_fma_f16 v116, v27, s35, v116 op_sel:[0,0,1] op_sel_hi:[1,1,0] neg_lo:[1,0,0] neg_hi:[1,0,0]
	v_add_f16_e32 v33, v115, v33
	s_mov_b32 s39, 0x3836bbb2
	s_mov_b32 s40, 0xb8d2b461
	v_add_f16_sdwa v13, v101, v13 dst_sel:DWORD dst_unused:UNUSED_PAD src0_sel:WORD_1 src1_sel:DWORD
	v_pk_fma_f16 v103, v32, s37, v117 op_sel:[0,0,1] op_sel_hi:[1,1,0]
	v_pk_mul_f16 v118, v39, s38
	v_pk_fma_f16 v117, v32, s37, v117 op_sel:[0,0,1] op_sel_hi:[1,1,0] neg_lo:[1,0,0] neg_hi:[1,0,0]
	v_add_f16_e32 v33, v116, v33
	s_mov_b32 s41, 0x3bb2ba62
	s_mov_b32 s42, 0xbacd3722
	;; [unrolled: 7-line block ×3, first 2 shown]
	v_add_f16_sdwa v13, v103, v13 dst_sel:DWORD dst_unused:UNUSED_PAD src0_sel:WORD_1 src1_sel:DWORD
	v_pk_fma_f16 v108, v40, s41, v119 op_sel:[0,0,1] op_sel_hi:[1,1,0]
	v_pk_mul_f16 v120, v47, s42
	s_load_dwordx2 s[8:9], s[4:5], 0x20
	s_nop 0
	s_load_dwordx2 s[4:5], s[4:5], 0x8
	v_pk_fma_f16 v119, v40, s41, v119 op_sel:[0,0,1] op_sel_hi:[1,1,0] neg_lo:[1,0,0] neg_hi:[1,0,0]
	v_add_f16_e32 v33, v118, v33
	s_mov_b32 s45, 0x35c8b1e1
	v_add_f16_sdwa v13, v104, v13 dst_sel:DWORD dst_unused:UNUSED_PAD src0_sel:WORD_1 src1_sel:DWORD
	v_pk_fma_f16 v109, v45, s43, v120 op_sel:[0,0,1] op_sel_hi:[1,1,0]
	v_pk_mul_f16 v121, v51, s44
	v_mul_f16_e32 v113, 0x35c8, v46
	v_pk_fma_f16 v120, v45, s43, v120 op_sel:[0,0,1] op_sel_hi:[1,1,0] neg_lo:[1,0,0] neg_hi:[1,0,0]
	v_add_f16_e32 v33, v119, v33
	v_add_f16_sdwa v13, v108, v13 dst_sel:DWORD dst_unused:UNUSED_PAD src0_sel:WORD_1 src1_sel:DWORD
	v_pk_fma_f16 v110, v46, s45, v121 op_sel:[0,0,1] op_sel_hi:[1,1,0]
	v_fma_f16 v34, v136, s2, -v113
	v_pk_fma_f16 v121, v46, s45, v121 op_sel:[0,0,1] op_sel_hi:[1,1,0] neg_lo:[1,0,0] neg_hi:[1,0,0]
	v_add_f16_e32 v33, v120, v33
	v_mul_f16_sdwa v126, v46, s22 dst_sel:DWORD dst_unused:UNUSED_PAD src0_sel:WORD_1 src1_sel:DWORD
	v_add_f16_sdwa v13, v109, v13 dst_sel:DWORD dst_unused:UNUSED_PAD src0_sel:WORD_1 src1_sel:DWORD
	v_add_f16_e32 v34, v34, v36
	v_add_f16_e32 v36, v121, v33
	v_fma_f16 v33, v51, s18, v126
	v_add_f16_sdwa v13, v110, v13 dst_sel:DWORD dst_unused:UNUSED_PAD src0_sel:WORD_1 src1_sel:DWORD
	s_movk_i32 s30, 0x3b29
	v_add_f16_e32 v16, v33, v16
	v_mul_lo_u16_e32 v33, 17, v29
	s_waitcnt lgkmcnt(0)
	s_barrier
	s_and_saveexec_b64 s[0:1], vcc
	s_cbranch_execz .LBB0_7
; %bb.6:
	v_mul_f16_e32 v202, 0xb8d2, v128
	v_fma_f16 v203, v23, s31, v202
	v_mul_f16_e32 v204, 0xb461, v25
	v_add_f16_sdwa v203, v203, v0 dst_sel:DWORD dst_unused:UNUSED_PAD src0_sel:DWORD src1_sel:WORD_1
	v_fma_f16 v205, v26, s3, v204
	v_add_f16_e32 v203, v205, v203
	v_mul_f16_e32 v205, 0x3b76, v130
	v_fma_f16 v206, v27, s20, v205
	v_add_f16_e32 v203, v206, v203
	v_mul_f16_e32 v206, 0xbacd, v131
	v_fma_f16 v207, v32, s28, v206
	v_add_f16_e32 v203, v207, v203
	v_mul_f16_e32 v207, 0x2de8, v133
	v_fma_f16 v208, v38, s25, v207
	v_add_f16_e32 v203, v208, v203
	v_mul_f16_e32 v208, 0x39e9, v134
	v_fma_f16 v209, v40, s19, v208
	v_add_f16_e32 v203, v209, v203
	v_mul_f16_e32 v209, 0xbbdd, v135
	v_fma_f16 v210, v45, s34, v209
	v_add_f16_e32 v203, v210, v203
	v_mul_f16_e32 v210, 0x3722, v136
	v_fma_f16 v211, v46, s26, v210
	v_add_f16_e32 v203, v211, v203
	v_mul_f16_sdwa v211, v23, s24 dst_sel:DWORD dst_unused:UNUSED_PAD src0_sel:WORD_1 src1_sel:DWORD
	v_fma_f16 v212, v24, s23, v211
	v_mul_f16_sdwa v213, v26, s27 dst_sel:DWORD dst_unused:UNUSED_PAD src0_sel:WORD_1 src1_sel:DWORD
	v_add_f16_e32 v212, v212, v0
	v_fma_f16 v214, v50, s15, v213
	v_add_f16_e32 v212, v214, v212
	v_mul_f16_sdwa v214, v27, s29 dst_sel:DWORD dst_unused:UNUSED_PAD src0_sel:WORD_1 src1_sel:DWORD
	v_fma_f16 v215, v28, s2, v214
	v_add_f16_e32 v212, v215, v212
	v_mul_f16_sdwa v215, v32, s22 dst_sel:DWORD dst_unused:UNUSED_PAD src0_sel:WORD_1 src1_sel:DWORD
	;; [unrolled: 3-line block ×5, first 2 shown]
	v_fma_f16 v219, v47, s17, v218
	v_mul_f16_e32 v142, 0x2de8, v24
	v_add_f16_e32 v212, v219, v212
	v_mul_f16_sdwa v219, v46, s30 dst_sel:DWORD dst_unused:UNUSED_PAD src0_sel:WORD_1 src1_sel:DWORD
	v_mul_f16_e32 v139, 0x39e9, v128
	v_mul_f16_e32 v141, 0x3722, v128
	;; [unrolled: 1-line block ×5, first 2 shown]
	v_fma_f16 v220, v51, s11, v219
	v_mul_f16_e32 v128, 0xbacd, v128
	v_sub_f16_e32 v41, v142, v41
	v_mul_f16_e32 v158, 0xb461, v28
	v_add_f16_e32 v212, v220, v212
	v_fma_f16 v220, v23, s28, v128
	v_mul_f16_e32 v221, 0x3722, v25
	v_add_f16_e32 v41, v41, v0
	v_sub_f16_e32 v43, v150, v43
	v_mul_f16_e32 v155, 0xb8d2, v130
	v_mul_f16_e32 v157, 0xbbdd, v130
	;; [unrolled: 1-line block ×5, first 2 shown]
	v_add_f16_sdwa v220, v220, v0 dst_sel:DWORD dst_unused:UNUSED_PAD src0_sel:DWORD src1_sel:WORD_1
	v_fma_f16 v222, v26, s26, v221
	v_mul_f16_e32 v130, 0x2de8, v130
	v_add_f16_e32 v41, v43, v41
	v_sub_f16_e32 v43, v158, v48
	v_mul_f16_e32 v163, 0xbbdd, v131
	v_mul_f16_e32 v165, 0xb461, v131
	v_mul_f16_e32 v167, 0x3b76, v131
	v_mul_f16_e32 v169, 0x3722, v131
	v_mul_f16_e32 v174, 0x3722, v39
	v_add_f16_e32 v220, v222, v220
	v_fma_f16 v222, v27, s21, v130
	v_mul_f16_e32 v131, 0xb8d2, v131
	v_add_f16_e32 v41, v43, v41
	v_sub_f16_e32 v43, v166, v54
	v_mul_f16_e32 v171, 0xbacd, v133
	v_mul_f16_e32 v173, 0x39e9, v133
	v_mul_f16_e32 v175, 0x3722, v133
	v_mul_f16_e32 v177, 0xbbdd, v133
	v_mul_f16_e32 v182, 0xbacd, v42
	v_add_f16_e32 v220, v222, v220
	;; [unrolled: 10-line block ×4, first 2 shown]
	v_fma_f16 v222, v40, s34, v134
	v_mul_f16_e32 v135, 0x39e9, v135
	v_add_f16_e32 v41, v43, v41
	v_sub_f16_e32 v43, v190, v62
	v_mul_f16_e32 v195, 0x3b76, v136
	v_mul_f16_e32 v197, 0xbacd, v136
	;; [unrolled: 1-line block ×4, first 2 shown]
	v_add_f16_e32 v220, v222, v220
	v_fma_f16 v222, v45, s33, v135
	v_mul_f16_e32 v136, 0xb461, v136
	v_add_f16_e32 v41, v43, v41
	v_sub_f16_e32 v43, v198, v69
	v_mul_f16_e32 v144, 0xb461, v24
	v_mul_f16_e32 v149, 0xb8d2, v25
	v_add_f16_e32 v220, v222, v220
	v_fma_f16 v222, v46, s27, v136
	v_fma_f16 v128, v23, s22, v128
	v_add_f16_e32 v41, v43, v41
	v_add_f16_e32 v43, v75, v141
	v_mul_f16_e32 v152, 0xbacd, v50
	v_add_f16_e32 v220, v222, v220
	v_mul_f16_sdwa v222, v23, s22 dst_sel:DWORD dst_unused:UNUSED_PAD src0_sel:WORD_1 src1_sel:DWORD
	v_add_f16_sdwa v128, v128, v0 dst_sel:DWORD dst_unused:UNUSED_PAD src0_sel:DWORD src1_sel:WORD_1
	v_fma_f16 v221, v26, s30, v221
	v_sub_f16_e32 v44, v144, v44
	v_add_f16_sdwa v43, v43, v0 dst_sel:DWORD dst_unused:UNUSED_PAD src0_sel:DWORD src1_sel:WORD_1
	v_add_f16_e32 v48, v76, v149
	v_mul_f16_e32 v160, 0x39e9, v28
	v_fma_f16 v223, v24, s18, v222
	v_mul_f16_sdwa v224, v26, s30 dst_sel:DWORD dst_unused:UNUSED_PAD src0_sel:WORD_1 src1_sel:DWORD
	v_add_f16_e32 v128, v221, v128
	v_fma_f16 v130, v27, s25, v130
	v_add_f16_e32 v44, v44, v0
	v_sub_f16_e32 v49, v152, v49
	v_add_f16_e32 v43, v48, v43
	v_add_f16_e32 v48, v83, v157
	v_mul_f16_e32 v168, 0x3722, v37
	v_add_f16_e32 v223, v223, v0
	v_fma_f16 v225, v50, s11, v224
	v_add_f16_e32 v128, v130, v128
	v_fma_f16 v130, v32, s31, v131
	v_add_f16_e32 v44, v49, v44
	v_sub_f16_e32 v49, v160, v55
	v_add_f16_e32 v43, v48, v43
	v_add_f16_e32 v48, v89, v165
	v_mul_f16_e32 v176, 0xbbdd, v39
	v_add_f16_e32 v223, v225, v223
	v_mul_f16_sdwa v225, v27, s25 dst_sel:DWORD dst_unused:UNUSED_PAD src0_sel:WORD_1 src1_sel:DWORD
	v_add_f16_e32 v128, v130, v128
	v_fma_f16 v130, v38, s29, v133
	v_add_f16_e32 v44, v49, v44
	v_sub_f16_e32 v49, v168, v57
	v_add_f16_e32 v43, v48, v43
	v_add_f16_e32 v48, v93, v173
	v_mul_f16_e32 v184, 0x2de8, v42
	v_fma_f16 v226, v28, s14, v225
	v_add_f16_e32 v128, v130, v128
	v_fma_f16 v130, v40, s16, v134
	v_add_f16_e32 v44, v49, v44
	v_sub_f16_e32 v49, v176, v59
	v_add_f16_e32 v43, v48, v43
	v_add_f16_e32 v48, v97, v181
	v_mul_f16_e32 v192, 0x3b76, v47
	v_add_f16_e32 v223, v226, v223
	v_mul_f16_sdwa v226, v32, s31 dst_sel:DWORD dst_unused:UNUSED_PAD src0_sel:WORD_1 src1_sel:DWORD
	v_add_f16_e32 v128, v130, v128
	v_fma_f16 v130, v45, s19, v135
	v_add_f16_e32 v44, v49, v44
	v_sub_f16_e32 v49, v184, v64
	v_add_f16_e32 v43, v48, v43
	v_add_f16_e32 v48, v105, v189
	v_mul_f16_e32 v140, 0x3722, v24
	v_mul_f16_e32 v200, 0xb8d2, v51
	v_fma_f16 v227, v37, s23, v226
	v_add_f16_e32 v128, v130, v128
	v_fma_f16 v130, v46, s3, v136
	v_add_f16_e32 v44, v49, v44
	v_sub_f16_e32 v49, v192, v68
	v_add_f16_e32 v43, v48, v43
	v_add_f16_e32 v48, v125, v197
	v_mul_f16_e32 v148, 0xb8d2, v50
	v_add_f16_e32 v223, v227, v223
	v_mul_f16_sdwa v227, v38, s29 dst_sel:DWORD dst_unused:UNUSED_PAD src0_sel:WORD_1 src1_sel:DWORD
	v_add_f16_e32 v128, v130, v128
	v_fma_f16 v130, v24, s18, -v222
	v_add_f16_e32 v44, v49, v44
	v_sub_f16_e32 v49, v200, v80
	v_add_f16_e32 v43, v48, v43
	v_sub_f16_e32 v48, v140, v71
	v_mul_f16_e32 v151, 0xbbdd, v25
	v_mul_f16_e32 v156, 0xbbdd, v28
	v_fma_f16 v228, v39, s2, v227
	v_add_f16_e32 v130, v130, v0
	v_fma_f16 v131, v50, s11, -v224
	v_add_f16_e32 v44, v49, v44
	v_add_f16_e32 v49, v85, v143
	;; [unrolled: 1-line block ×3, first 2 shown]
	v_sub_f16_e32 v54, v148, v72
	v_mul_f16_e32 v164, 0xb461, v37
	v_add_f16_e32 v223, v228, v223
	v_mul_f16_sdwa v228, v40, s16 dst_sel:DWORD dst_unused:UNUSED_PAD src0_sel:WORD_1 src1_sel:DWORD
	v_add_f16_e32 v130, v131, v130
	v_fma_f16 v131, v28, s14, -v225
	v_add_f16_sdwa v49, v49, v0 dst_sel:DWORD dst_unused:UNUSED_PAD src0_sel:DWORD src1_sel:WORD_1
	v_add_f16_e32 v55, v87, v151
	v_add_f16_e32 v48, v54, v48
	v_sub_f16_e32 v54, v156, v78
	v_alignbit_b32 v137, v0, v0, 16
	v_mul_f16_e32 v172, 0x39e9, v39
	v_fma_f16 v229, v42, s17, v228
	v_add_f16_e32 v130, v131, v130
	v_fma_f16 v131, v37, s23, -v226
	v_add_f16_e32 v49, v55, v49
	v_add_f16_e32 v55, v94, v159
	;; [unrolled: 1-line block ×3, first 2 shown]
	v_sub_f16_e32 v54, v164, v82
	v_alignbit_b32 v60, v60, v60, 16
	v_mul_f16_e32 v180, 0x3b76, v42
	v_add_f16_e32 v223, v229, v223
	v_mul_f16_sdwa v229, v45, s19 dst_sel:DWORD dst_unused:UNUSED_PAD src0_sel:WORD_1 src1_sel:DWORD
	v_add_f16_e32 v130, v131, v130
	v_fma_f16 v131, v39, s2, -v227
	v_add_f16_e32 v49, v55, v49
	v_add_f16_e32 v55, v99, v167
	;; [unrolled: 1-line block ×3, first 2 shown]
	v_sub_f16_e32 v54, v172, v88
	v_pk_add_f16 v1, v1, v137 op_sel:[0,1] op_sel_hi:[1,0]
	v_mul_f16_e32 v188, 0x2de8, v47
	v_fma_f16 v230, v47, s10, v229
	v_add_f16_e32 v130, v131, v130
	v_fma_f16 v131, v42, s17, -v228
	v_add_f16_e32 v49, v55, v49
	v_add_f16_e32 v55, v106, v175
	;; [unrolled: 1-line block ×3, first 2 shown]
	v_sub_f16_e32 v54, v180, v91
	v_pk_add_f16 v1, v60, v1
	v_mul_f16_e32 v196, 0xbacd, v51
	v_add_f16_e32 v223, v230, v223
	v_mul_f16_sdwa v230, v46, s3 dst_sel:DWORD dst_unused:UNUSED_PAD src0_sel:WORD_1 src1_sel:DWORD
	v_add_f16_e32 v130, v131, v130
	v_fma_f16 v131, v47, s10, -v229
	v_add_f16_e32 v49, v55, v49
	v_add_f16_e32 v55, v111, v183
	;; [unrolled: 1-line block ×3, first 2 shown]
	v_sub_f16_e32 v54, v188, v95
	v_pk_add_f16 v1, v15, v1
	v_add_f16_e32 v130, v131, v130
	v_fma_f16 v131, v51, s15, -v230
	v_add_f16_e32 v49, v55, v49
	v_add_f16_e32 v55, v122, v191
	;; [unrolled: 1-line block ×3, first 2 shown]
	v_sub_f16_e32 v54, v196, v126
	v_pk_add_f16 v1, v17, v1
	v_mul_f16_e32 v147, 0x2de8, v25
	v_add_f16_e32 v130, v131, v130
	v_fma_f16 v131, v23, s24, v202
	v_add_f16_e32 v49, v55, v49
	v_add_f16_e32 v55, v129, v199
	;; [unrolled: 1-line block ×4, first 2 shown]
	v_pk_add_f16 v1, v18, v1
	v_add_f16_sdwa v131, v131, v0 dst_sel:DWORD dst_unused:UNUSED_PAD src0_sel:DWORD src1_sel:WORD_1
	v_fma_f16 v133, v26, s27, v204
	v_add_f16_e32 v49, v55, v49
	v_add_f16_sdwa v54, v54, v0 dst_sel:DWORD dst_unused:UNUSED_PAD src0_sel:DWORD src1_sel:WORD_1
	v_add_f16_e32 v55, v66, v147
	v_pk_add_f16 v1, v10, v1
	v_add_f16_e32 v131, v133, v131
	v_fma_f16 v133, v27, s29, v205
	v_add_f16_e32 v54, v55, v54
	v_add_f16_e32 v55, v73, v155
	v_pk_add_f16 v1, v11, v1
	v_add_f16_e32 v131, v133, v131
	v_fma_f16 v133, v32, s22, v206
	v_add_f16_e32 v54, v55, v54
	;; [unrolled: 5-line block ×5, first 2 shown]
	v_add_f16_e32 v55, v90, v187
	v_pk_add_f16 v1, v9, v1
	v_mul_f16_e32 v138, 0x3b76, v24
	v_add_f16_e32 v131, v133, v131
	v_fma_f16 v133, v46, s30, v210
	v_add_f16_e32 v54, v55, v54
	v_add_f16_e32 v55, v113, v195
	s_mov_b32 s25, 0xffff
	v_pk_add_f16 v1, v4, v1
	v_mul_f16_e32 v146, 0x39e9, v50
	v_add_f16_e32 v131, v133, v131
	v_fma_f16 v133, v24, s23, -v211
	v_add_f16_e32 v96, v96, v145
	v_add_f16_e32 v54, v55, v54
	v_bfi_b32 v55, s25, v100, v114
	v_sub_f16_e32 v61, v138, v61
	v_pk_add_f16 v1, v5, v1
	v_mul_f16_e32 v154, 0x3722, v28
	v_add_f16_e32 v133, v133, v0
	v_add_f16_sdwa v96, v96, v0 dst_sel:DWORD dst_unused:UNUSED_PAD src0_sel:DWORD src1_sel:WORD_1
	v_bfi_b32 v56, s25, v101, v115
	v_add_f16_e32 v0, v61, v0
	v_sub_f16_e32 v61, v146, v63
	v_pk_add_f16 v1, v2, v1
	v_pk_add_f16 v2, v55, v137
	v_mul_f16_e32 v153, 0xbacd, v25
	v_mul_f16_e32 v162, 0x2de8, v37
	v_bfi_b32 v57, s25, v102, v116
	v_add_f16_e32 v0, v61, v0
	v_sub_f16_e32 v61, v154, v67
	v_pk_add_f16 v2, v56, v2
	v_mul_f16_e32 v170, 0xb461, v39
	v_fma_f16 v50, v50, s15, -v213
	v_add_f16_e32 v98, v98, v153
	v_bfi_b32 v58, s25, v103, v117
	v_add_f16_e32 v0, v61, v0
	v_sub_f16_e32 v61, v162, v70
	v_pk_add_f16 v2, v57, v2
	v_mul_f16_e32 v178, 0xb8d2, v42
	v_add_f16_e32 v50, v50, v133
	v_fma_f16 v133, v28, s2, -v214
	v_add_f16_e32 v96, v98, v96
	v_add_f16_e32 v98, v107, v161
	v_bfi_b32 v59, s25, v104, v118
	v_add_f16_e32 v0, v61, v0
	v_sub_f16_e32 v61, v170, v74
	v_pk_add_f16 v2, v58, v2
	v_mul_f16_e32 v186, 0xbacd, v47
	v_add_f16_e32 v50, v133, v50
	v_fma_f16 v133, v37, s18, -v215
	v_add_f16_e32 v96, v98, v96
	;; [unrolled: 9-line block ×3, first 2 shown]
	v_add_f16_e32 v98, v123, v177
	v_bfi_b32 v64, s25, v109, v120
	v_add_f16_e32 v0, v61, v0
	v_sub_f16_e32 v61, v186, v84
	v_pk_add_f16 v2, v62, v2
	v_add_f16_e32 v50, v133, v50
	v_fma_f16 v133, v42, s10, -v217
	v_add_f16_e32 v96, v98, v96
	v_add_f16_e32 v98, v124, v185
	v_bfi_b32 v65, s25, v110, v121
	v_add_f16_e32 v0, v61, v0
	v_sub_f16_e32 v61, v194, v92
	v_pk_add_f16 v2, v64, v2
	v_add_f16_e32 v50, v133, v50
	v_fma_f16 v133, v47, s17, -v218
	v_add_f16_e32 v96, v98, v96
	v_add_f16_e32 v98, v127, v193
	;; [unrolled: 1-line block ×3, first 2 shown]
	v_pk_add_f16 v2, v65, v2
	v_add_f16_e32 v50, v133, v50
	v_fma_f16 v133, v51, s11, -v219
	v_add_f16_e32 v96, v98, v96
	v_add_f16_e32 v98, v132, v201
	v_add_lshl_u32 v15, v21, v33, 2
	v_pk_add_f16 v1, v3, v1
	v_alignbit_b32 v3, v54, v2, 16
	v_pack_b32_f16 v0, v0, v2
	v_add_f16_e32 v50, v133, v50
	v_add_f16_e32 v96, v98, v96
	ds_write2_b32 v15, v0, v3 offset0:1 offset1:2
	v_pack_b32_f16 v0, v41, v49
	v_pack_b32_f16 v2, v48, v43
	ds_write2_b32 v15, v2, v0 offset0:3 offset1:4
	v_pack_b32_f16 v0, v44, v96
	v_pack_b32_f16 v2, v50, v131
	v_pk_add_f16 v1, v22, v1
	ds_write2_b32 v15, v0, v2 offset0:5 offset1:6
	v_pack_b32_f16 v0, v130, v128
	ds_write2_b32 v15, v1, v0 offset1:7
	v_pk_mul_f16 v0, v24, s17 op_sel_hi:[1,0]
	v_pk_fma_f16 v1, v23, s16, v0 op_sel:[0,0,1] op_sel_hi:[1,0,0] neg_lo:[1,0,0] neg_hi:[1,0,0]
	v_pk_mul_f16 v2, v26, s20 op_sel_hi:[1,0]
	v_pk_add_f16 v1, v1, v137
	v_pk_fma_f16 v3, v25, s2, v2 op_sel_hi:[1,0,1] neg_lo:[0,0,1] neg_hi:[0,0,1]
	v_pk_add_f16 v1, v3, v1
	v_pk_mul_f16 v3, v28, s18 op_sel_hi:[1,0]
	v_pk_fma_f16 v4, v27, s22, v3 op_sel:[0,0,1] op_sel_hi:[1,0,0] neg_lo:[1,0,0] neg_hi:[1,0,0]
	v_pk_add_f16 v1, v4, v1
	v_pk_mul_f16 v4, v37, s10 op_sel_hi:[1,0]
	v_pk_fma_f16 v5, v32, s19, v4 op_sel:[0,0,1] op_sel_hi:[1,0,0] neg_lo:[1,0,0] neg_hi:[1,0,0]
	v_pk_add_f16 v1, v5, v1
	v_pk_mul_f16 v5, v39, s23 op_sel_hi:[1,0]
	v_pk_fma_f16 v0, v23, s16, v0 op_sel:[0,0,1] op_sel_hi:[1,0,0]
	v_pk_fma_f16 v6, v38, s24, v5 op_sel:[0,0,1] op_sel_hi:[1,0,0] neg_lo:[1,0,0] neg_hi:[1,0,0]
	v_pk_add_f16 v0, v0, v137
	v_pk_fma_f16 v2, v25, s2, v2 op_sel_hi:[1,0,1]
	v_pk_add_f16 v1, v6, v1
	v_pk_mul_f16 v6, v42, s11 op_sel_hi:[1,0]
	v_pk_add_f16 v0, v2, v0
	v_pk_fma_f16 v2, v27, s22, v3 op_sel:[0,0,1] op_sel_hi:[1,0,0]
	v_pk_fma_f16 v7, v40, s30, v6 op_sel:[0,0,1] op_sel_hi:[1,0,0] neg_lo:[1,0,0] neg_hi:[1,0,0]
	v_pk_add_f16 v0, v2, v0
	v_pk_fma_f16 v2, v32, s19, v4 op_sel:[0,0,1] op_sel_hi:[1,0,0]
	v_pk_add_f16 v1, v7, v1
	v_pk_mul_f16 v7, v47, s15 op_sel_hi:[1,0]
	v_pk_add_f16 v0, v2, v0
	v_pk_fma_f16 v2, v38, s24, v5 op_sel:[0,0,1] op_sel_hi:[1,0,0]
	v_pk_fma_f16 v8, v45, s3, v7 op_sel:[0,0,1] op_sel_hi:[1,0,0] neg_lo:[1,0,0] neg_hi:[1,0,0]
	v_pk_add_f16 v0, v2, v0
	v_pk_fma_f16 v2, v40, s30, v6 op_sel:[0,0,1] op_sel_hi:[1,0,0]
	;; [unrolled: 7-line block ×3, first 2 shown]
	v_fma_f16 v231, v51, s15, v230
	v_pk_add_f16 v1, v9, v1
	v_pk_add_f16 v0, v2, v0
	v_add_f16_e32 v223, v231, v223
	v_alignbit_b32 v2, v1, v0, 16
	v_alignbit_b32 v0, v0, v1, 16
	ds_write2_b32 v15, v0, v2 offset0:8 offset1:9
	v_pack_b32_f16 v0, v212, v203
	v_pack_b32_f16 v1, v223, v220
	s_mov_b32 s2, 0x5040100
	ds_write2_b32 v15, v1, v0 offset0:10 offset1:11
	v_perm_b32 v0, v52, v20, s2
	v_perm_b32 v1, v53, v19, s2
	ds_write2_b32 v15, v1, v0 offset0:12 offset1:13
	v_perm_b32 v0, v34, v13, s2
	v_perm_b32 v1, v35, v16, s2
	ds_write2_b32 v15, v1, v0 offset0:14 offset1:15
	v_perm_b32 v0, v36, v14, s2
	ds_write_b32 v15, v0 offset:64
.LBB0_7:
	s_or_b64 exec, exec, s[0:1]
	v_add_lshl_u32 v37, v21, v29, 2
	v_add_u32_e32 v6, 0x400, v37
	s_waitcnt lgkmcnt(0)
	s_barrier
	ds_read2_b32 v[4:5], v37 offset1:34
	ds_read2_b32 v[8:9], v37 offset0:221 offset1:255
	ds_read2_b32 v[2:3], v37 offset0:68 offset1:102
	;; [unrolled: 1-line block ×5, first 2 shown]
	v_cmp_gt_u16_e64 s[0:1], 17, v29
	s_and_saveexec_b64 s[2:3], s[0:1]
	s_cbranch_execz .LBB0_9
; %bb.8:
	v_add_u32_e32 v15, 0x300, v37
	ds_read2_b32 v[19:20], v15 offset0:12 offset1:233
	s_waitcnt lgkmcnt(0)
	v_lshrrev_b32_e32 v53, 16, v19
	v_lshrrev_b32_e32 v52, 16, v20
.LBB0_9:
	s_or_b64 exec, exec, s[2:3]
	s_movk_i32 s2, 0xffef
	v_add_co_u32_e64 v15, s[2:3], s2, v29
	v_addc_co_u32_e64 v17, s[2:3], 0, -1, s[2:3]
	v_cndmask_b32_e64 v23, v17, 0, s[0:1]
	v_cndmask_b32_e64 v22, v15, v29, s[0:1]
	v_lshlrev_b64 v[17:18], 2, v[22:23]
	v_mov_b32_e32 v15, s5
	v_add_co_u32_e64 v17, s[2:3], s4, v17
	v_addc_co_u32_e64 v18, s[2:3], v15, v18, s[2:3]
	v_add_u16_e32 v15, 34, v29
	s_movk_i32 s2, 0xf1
	v_add_u16_e32 v32, 0x66, v29
	v_mul_lo_u16_sdwa v23, v15, s2 dst_sel:DWORD dst_unused:UNUSED_PAD src0_sel:BYTE_0 src1_sel:DWORD
	v_mul_lo_u16_sdwa v38, v32, s2 dst_sel:DWORD dst_unused:UNUSED_PAD src0_sel:BYTE_0 src1_sel:DWORD
	v_lshrrev_b16_e32 v23, 12, v23
	v_add_u16_e32 v26, 0x44, v29
	v_lshrrev_b16_e32 v49, 12, v38
	v_add_u16_e32 v39, 0x88, v29
	v_mul_lo_u16_e32 v24, 17, v23
	v_mul_lo_u16_sdwa v27, v26, s2 dst_sel:DWORD dst_unused:UNUSED_PAD src0_sel:BYTE_0 src1_sel:DWORD
	v_mul_lo_u16_e32 v38, 17, v49
	global_load_dword v43, v[17:18], off
	v_mul_lo_u16_sdwa v17, v39, s2 dst_sel:DWORD dst_unused:UNUSED_PAD src0_sel:BYTE_0 src1_sel:DWORD
	v_sub_u16_e32 v24, v15, v24
	v_mov_b32_e32 v15, 2
	v_lshrrev_b16_e32 v27, 12, v27
	v_sub_u16_e32 v32, v32, v38
	v_lshrrev_b16_e32 v18, 12, v17
	v_lshlrev_b32_sdwa v25, v15, v24 dst_sel:DWORD dst_unused:UNUSED_PAD src0_sel:DWORD src1_sel:BYTE_0
	v_mul_lo_u16_e32 v28, 17, v27
	v_lshlrev_b32_sdwa v38, v15, v32 dst_sel:DWORD dst_unused:UNUSED_PAD src0_sel:DWORD src1_sel:BYTE_0
	v_mul_lo_u16_e32 v17, 17, v18
	v_sub_u16_e32 v26, v26, v28
	global_load_dword v42, v25, s[4:5]
	global_load_dword v40, v38, s[4:5]
	v_sub_u16_e32 v25, v39, v17
	v_lshlrev_b32_sdwa v28, v15, v26 dst_sel:DWORD dst_unused:UNUSED_PAD src0_sel:DWORD src1_sel:BYTE_0
	v_lshlrev_b32_sdwa v17, v15, v25 dst_sel:DWORD dst_unused:UNUSED_PAD src0_sel:DWORD src1_sel:BYTE_0
	global_load_dword v41, v28, s[4:5]
	global_load_dword v44, v17, s[4:5]
	v_add_u16_e32 v28, 0xaa, v29
	v_mul_lo_u16_sdwa v38, v28, s2 dst_sel:DWORD dst_unused:UNUSED_PAD src0_sel:BYTE_0 src1_sel:DWORD
	v_lshrrev_b16_e32 v51, 12, v38
	v_mul_lo_u16_e32 v38, 17, v51
	v_sub_u16_e32 v28, v28, v38
	v_lshlrev_b32_sdwa v15, v15, v28 dst_sel:DWORD dst_unused:UNUSED_PAD src0_sel:DWORD src1_sel:BYTE_0
	global_load_dword v45, v15, s[4:5]
	v_add_u16_e32 v38, 0xcc, v29
	v_mul_lo_u16_sdwa v17, v38, s2 dst_sel:DWORD dst_unused:UNUSED_PAD src0_sel:BYTE_0 src1_sel:DWORD
	v_lshrrev_b16_e32 v17, 12, v17
	v_mul_lo_u16_e32 v17, 17, v17
	v_sub_u16_e32 v38, v38, v17
	v_and_b32_e32 v17, 0xff, v38
	v_lshlrev_b32_e32 v15, 2, v17
	global_load_dword v39, v15, s[4:5]
	s_waitcnt lgkmcnt(4)
	v_lshrrev_b32_e32 v46, 16, v8
	s_waitcnt lgkmcnt(0)
	v_lshrrev_b32_e32 v58, 16, v6
	v_lshrrev_b32_e32 v60, 16, v7
	;; [unrolled: 1-line block ×4, first 2 shown]
	v_cmp_lt_u16_e64 s[2:3], 16, v29
	v_lshrrev_b32_e32 v47, 16, v5
	s_load_dwordx4 s[8:11], s[8:9], 0x0
	v_lshrrev_b32_e32 v54, 16, v10
	s_waitcnt vmcnt(0) lgkmcnt(0)
	s_barrier
	v_lshrrev_b32_e32 v50, 16, v2
	v_lshrrev_b32_e32 v56, 16, v11
	;; [unrolled: 1-line block ×5, first 2 shown]
	v_mul_f16_sdwa v61, v46, v43 dst_sel:DWORD dst_unused:UNUSED_PAD src0_sel:DWORD src1_sel:WORD_1
	v_mul_f16_sdwa v62, v8, v43 dst_sel:DWORD dst_unused:UNUSED_PAD src0_sel:DWORD src1_sel:WORD_1
	v_fma_f16 v8, v8, v43, -v61
	v_fma_f16 v46, v46, v43, v62
	v_sub_f16_e32 v8, v4, v8
	v_sub_f16_e32 v62, v15, v46
	v_fma_f16 v4, v4, 2.0, -v8
	v_pack_b32_f16 v8, v8, v62
	v_mul_f16_sdwa v63, v48, v42 dst_sel:DWORD dst_unused:UNUSED_PAD src0_sel:DWORD src1_sel:WORD_1
	v_mul_f16_sdwa v64, v9, v42 dst_sel:DWORD dst_unused:UNUSED_PAD src0_sel:DWORD src1_sel:WORD_1
	v_fma_f16 v9, v9, v42, -v63
	v_fma_f16 v63, v15, 2.0, -v62
	v_fma_f16 v48, v48, v42, v64
	v_pack_b32_f16 v4, v4, v63
	v_mul_f16_sdwa v61, v58, v44 dst_sel:DWORD dst_unused:UNUSED_PAD src0_sel:DWORD src1_sel:WORD_1
	v_fma_f16 v61, v6, v44, -v61
	v_mul_f16_sdwa v6, v6, v44 dst_sel:DWORD dst_unused:UNUSED_PAD src0_sel:DWORD src1_sel:WORD_1
	v_fma_f16 v6, v58, v44, v6
	v_sub_f16_e32 v9, v5, v9
	v_sub_f16_e32 v48, v47, v48
	v_mul_f16_sdwa v65, v54, v41 dst_sel:DWORD dst_unused:UNUSED_PAD src0_sel:DWORD src1_sel:WORD_1
	v_mul_f16_sdwa v58, v60, v45 dst_sel:DWORD dst_unused:UNUSED_PAD src0_sel:DWORD src1_sel:WORD_1
	v_fma_f16 v58, v7, v45, -v58
	v_mul_f16_sdwa v7, v7, v45 dst_sel:DWORD dst_unused:UNUSED_PAD src0_sel:DWORD src1_sel:WORD_1
	v_fma_f16 v7, v60, v45, v7
	v_mul_f16_sdwa v66, v10, v41 dst_sel:DWORD dst_unused:UNUSED_PAD src0_sel:DWORD src1_sel:WORD_1
	v_fma_f16 v5, v5, 2.0, -v9
	v_fma_f16 v64, v47, 2.0, -v48
	v_fma_f16 v10, v10, v41, -v65
	v_mul_f16_sdwa v60, v52, v39 dst_sel:DWORD dst_unused:UNUSED_PAD src0_sel:DWORD src1_sel:WORD_1
	v_fma_f16 v60, v20, v39, -v60
	v_mul_f16_sdwa v20, v20, v39 dst_sel:DWORD dst_unused:UNUSED_PAD src0_sel:DWORD src1_sel:WORD_1
	v_fma_f16 v20, v52, v39, v20
	v_sub_f16_e32 v52, v53, v20
	v_cndmask_b32_e64 v20, 0, 34, s[2:3]
	v_add_u32_e32 v20, v22, v20
	v_add_lshl_u32 v46, v21, v20, 2
	ds_write2_b32 v46, v4, v8 offset1:17
	v_mad_legacy_u16 v4, v23, 34, v24
	v_and_b32_e32 v4, 0xff, v4
	v_fma_f16 v54, v54, v41, v66
	v_add_lshl_u32 v47, v21, v4, 2
	v_pack_b32_f16 v4, v5, v64
	v_pack_b32_f16 v5, v9, v48
	v_sub_f16_e32 v10, v2, v10
	v_sub_f16_e32 v54, v50, v54
	ds_write2_b32 v47, v4, v5 offset1:17
	v_mul_u32_u24_e32 v4, 34, v27
	v_mul_f16_sdwa v67, v56, v40 dst_sel:DWORD dst_unused:UNUSED_PAD src0_sel:DWORD src1_sel:WORD_1
	v_mul_f16_sdwa v68, v11, v40 dst_sel:DWORD dst_unused:UNUSED_PAD src0_sel:DWORD src1_sel:WORD_1
	v_fma_f16 v2, v2, 2.0, -v10
	v_fma_f16 v50, v50, 2.0, -v54
	v_add_u32_sdwa v4, v4, v26 dst_sel:DWORD dst_unused:UNUSED_PAD src0_sel:DWORD src1_sel:BYTE_0
	v_fma_f16 v11, v11, v40, -v67
	v_fma_f16 v56, v56, v40, v68
	v_add_lshl_u32 v48, v21, v4, 2
	v_pack_b32_f16 v2, v2, v50
	v_pack_b32_f16 v4, v10, v54
	v_sub_f16_e32 v11, v3, v11
	v_sub_f16_e32 v56, v55, v56
	ds_write2_b32 v48, v2, v4 offset1:17
	v_mul_u32_u24_e32 v2, 34, v49
	v_fma_f16 v3, v3, 2.0, -v11
	v_fma_f16 v55, v55, 2.0, -v56
	v_add_u32_sdwa v2, v2, v32 dst_sel:DWORD dst_unused:UNUSED_PAD src0_sel:DWORD src1_sel:BYTE_0
	v_add_lshl_u32 v49, v21, v2, 2
	v_pack_b32_f16 v2, v3, v55
	v_pack_b32_f16 v3, v11, v56
	v_sub_f16_e32 v61, v0, v61
	v_sub_f16_e32 v6, v57, v6
	ds_write2_b32 v49, v2, v3 offset1:17
	v_mul_u32_u24_e32 v2, 34, v18
	v_fma_f16 v0, v0, 2.0, -v61
	v_fma_f16 v57, v57, 2.0, -v6
	v_add_u32_sdwa v2, v2, v25 dst_sel:DWORD dst_unused:UNUSED_PAD src0_sel:DWORD src1_sel:BYTE_0
	;; [unrolled: 10-line block ×3, first 2 shown]
	v_sub_f16_e32 v15, v19, v60
	v_add_lshl_u32 v51, v21, v0, 2
	v_pack_b32_f16 v0, v1, v59
	v_pack_b32_f16 v1, v58, v7
	ds_write2_b32 v51, v0, v1 offset1:17
	s_and_saveexec_b64 s[2:3], s[0:1]
	s_cbranch_execz .LBB0_11
; %bb.10:
	v_fma_f16 v0, v19, 2.0, -v15
	v_fma_f16 v1, v53, 2.0, -v52
	v_add_lshl_u32 v2, v21, v17, 2
	s_mov_b32 s14, 0x5040100
	v_pack_b32_f16 v0, v0, v1
	v_perm_b32 v1, v52, v15, s14
	v_add_u32_e32 v2, 0x400, v2
	ds_write2_b32 v2, v0, v1 offset0:152 offset1:169
.LBB0_11:
	s_or_b64 exec, exec, s[2:3]
	v_mad_u64_u32 v[17:18], s[2:3], v29, 48, s[4:5]
	s_waitcnt lgkmcnt(0)
	s_barrier
	global_load_dwordx4 v[0:3], v[17:18], off offset:68
	global_load_dwordx4 v[4:7], v[17:18], off offset:84
	;; [unrolled: 1-line block ×3, first 2 shown]
	ds_read2_b32 v[17:18], v37 offset1:34
	ds_read2_b32 v[19:20], v37 offset0:68 offset1:102
	ds_read2_b32 v[21:22], v37 offset0:136 offset1:170
	;; [unrolled: 1-line block ×3, first 2 shown]
	v_add_u32_e32 v27, 0x400, v37
	s_waitcnt lgkmcnt(3)
	v_lshrrev_b32_e32 v53, 16, v18
	s_waitcnt lgkmcnt(2)
	v_lshrrev_b32_e32 v54, 16, v19
	v_lshrrev_b32_e32 v55, 16, v20
	ds_read_b32 v32, v37 offset:1632
	ds_read2_b32 v[25:26], v27 offset0:16 offset1:50
	ds_read2_b32 v[27:28], v27 offset0:84 offset1:118
	s_waitcnt lgkmcnt(4)
	v_lshrrev_b32_e32 v56, 16, v21
	v_lshrrev_b32_e32 v57, 16, v22
	s_waitcnt lgkmcnt(3)
	v_lshrrev_b32_e32 v58, 16, v23
	v_lshrrev_b32_e32 v59, 16, v24
	;; [unrolled: 3-line block ×4, first 2 shown]
	v_lshrrev_b32_e32 v60, 16, v32
	s_movk_i32 s4, 0x3b15
	s_movk_i32 s3, 0x388b
	;; [unrolled: 1-line block ×3, first 2 shown]
	s_mov_b32 s5, 0xb5ac
	s_mov_b32 s14, 0xb9fd
	;; [unrolled: 1-line block ×3, first 2 shown]
	s_waitcnt vmcnt(2)
	v_mul_f16_sdwa v65, v53, v0 dst_sel:DWORD dst_unused:UNUSED_PAD src0_sel:DWORD src1_sel:WORD_1
	v_mul_f16_sdwa v66, v18, v0 dst_sel:DWORD dst_unused:UNUSED_PAD src0_sel:DWORD src1_sel:WORD_1
	;; [unrolled: 1-line block ×3, first 2 shown]
	v_fma_f16 v18, v18, v0, -v65
	v_mul_f16_sdwa v68, v19, v1 dst_sel:DWORD dst_unused:UNUSED_PAD src0_sel:DWORD src1_sel:WORD_1
	v_mul_f16_sdwa v69, v55, v2 dst_sel:DWORD dst_unused:UNUSED_PAD src0_sel:DWORD src1_sel:WORD_1
	v_fma_f16 v65, v53, v0, v66
	v_fma_f16 v19, v19, v1, -v67
	v_add_f16_e32 v53, v17, v18
	v_mul_f16_sdwa v70, v20, v2 dst_sel:DWORD dst_unused:UNUSED_PAD src0_sel:DWORD src1_sel:WORD_1
	v_mul_f16_sdwa v71, v56, v3 dst_sel:DWORD dst_unused:UNUSED_PAD src0_sel:DWORD src1_sel:WORD_1
	v_fma_f16 v66, v54, v1, v68
	v_fma_f16 v20, v20, v2, -v69
	v_add_f16_sdwa v54, v17, v65 dst_sel:DWORD dst_unused:UNUSED_PAD src0_sel:WORD_1 src1_sel:DWORD
	v_add_f16_e32 v53, v53, v19
	v_mul_f16_sdwa v72, v21, v3 dst_sel:DWORD dst_unused:UNUSED_PAD src0_sel:DWORD src1_sel:WORD_1
	s_waitcnt vmcnt(1)
	v_mul_f16_sdwa v73, v57, v4 dst_sel:DWORD dst_unused:UNUSED_PAD src0_sel:DWORD src1_sel:WORD_1
	v_fma_f16 v55, v55, v2, v70
	v_fma_f16 v21, v21, v3, -v71
	v_add_f16_e32 v54, v54, v66
	v_add_f16_e32 v53, v53, v20
	v_mul_f16_sdwa v74, v22, v4 dst_sel:DWORD dst_unused:UNUSED_PAD src0_sel:DWORD src1_sel:WORD_1
	v_mul_f16_sdwa v75, v58, v5 dst_sel:DWORD dst_unused:UNUSED_PAD src0_sel:DWORD src1_sel:WORD_1
	v_fma_f16 v56, v56, v3, v72
	v_fma_f16 v22, v22, v4, -v73
	v_add_f16_e32 v54, v54, v55
	v_add_f16_e32 v53, v53, v21
	v_mul_f16_sdwa v76, v23, v5 dst_sel:DWORD dst_unused:UNUSED_PAD src0_sel:DWORD src1_sel:WORD_1
	;; [unrolled: 6-line block ×4, first 2 shown]
	s_waitcnt vmcnt(0)
	v_mul_f16_sdwa v81, v62, v8 dst_sel:DWORD dst_unused:UNUSED_PAD src0_sel:DWORD src1_sel:WORD_1
	v_fma_f16 v59, v59, v6, v78
	v_fma_f16 v25, v25, v7, -v79
	v_add_f16_e32 v54, v54, v58
	v_add_f16_e32 v53, v53, v24
	v_mul_f16_sdwa v82, v26, v8 dst_sel:DWORD dst_unused:UNUSED_PAD src0_sel:DWORD src1_sel:WORD_1
	v_mul_f16_sdwa v83, v63, v9 dst_sel:DWORD dst_unused:UNUSED_PAD src0_sel:DWORD src1_sel:WORD_1
	v_fma_f16 v61, v61, v7, v80
	v_fma_f16 v26, v26, v8, -v81
	v_add_f16_e32 v54, v54, v59
	v_add_f16_e32 v53, v53, v25
	v_mul_f16_sdwa v84, v27, v9 dst_sel:DWORD dst_unused:UNUSED_PAD src0_sel:DWORD src1_sel:WORD_1
	;; [unrolled: 6-line block ×3, first 2 shown]
	v_mul_f16_sdwa v87, v60, v11 dst_sel:DWORD dst_unused:UNUSED_PAD src0_sel:DWORD src1_sel:WORD_1
	v_mul_f16_sdwa v88, v32, v11 dst_sel:DWORD dst_unused:UNUSED_PAD src0_sel:DWORD src1_sel:WORD_1
	v_fma_f16 v63, v63, v9, v84
	v_fma_f16 v28, v28, v10, -v85
	v_add_f16_e32 v54, v54, v62
	v_add_f16_e32 v53, v53, v27
	v_fma_f16 v64, v64, v10, v86
	v_fma_f16 v32, v32, v11, -v87
	v_fma_f16 v60, v60, v11, v88
	v_add_f16_e32 v54, v54, v63
	v_add_f16_e32 v53, v53, v28
	;; [unrolled: 1-line block ×5, first 2 shown]
	v_sub_f16_e32 v18, v18, v32
	v_sub_f16_e32 v32, v65, v60
	v_add_f16_e32 v54, v54, v60
	v_add_f16_e32 v68, v65, v60
	v_mul_f16_e32 v60, 0xb770, v32
	v_mul_f16_e32 v69, 0xb770, v18
	v_mul_f16_e32 v71, 0xba95, v32
	v_mul_f16_e32 v73, 0xba95, v18
	v_mul_f16_e32 v75, 0xbbf1, v32
	v_mul_f16_e32 v77, 0xbbf1, v18
	v_mul_f16_e32 v79, 0xbb7b, v32
	v_mul_f16_e32 v81, 0xbb7b, v18
	v_mul_f16_e32 v83, 0xb94e, v32
	v_mul_f16_e32 v85, 0xb94e, v18
	v_mul_f16_e32 v32, 0xb3a8, v32
	v_mul_f16_e32 v18, 0xb3a8, v18
	v_fma_f16 v65, v67, s4, -v60
	v_fma_f16 v70, v68, s4, v69
	v_fma_f16 v60, v67, s4, v60
	v_fma_f16 v69, v68, s4, -v69
	v_fma_f16 v72, v67, s3, -v71
	v_fma_f16 v74, v68, s3, v73
	v_fma_f16 v71, v67, s3, v71
	v_fma_f16 v73, v68, s3, -v73
	;; [unrolled: 4-line block ×6, first 2 shown]
	v_add_f16_e32 v65, v17, v65
	v_add_f16_sdwa v70, v17, v70 dst_sel:DWORD dst_unused:UNUSED_PAD src0_sel:WORD_1 src1_sel:DWORD
	v_add_f16_e32 v60, v17, v60
	v_add_f16_sdwa v69, v17, v69 dst_sel:DWORD dst_unused:UNUSED_PAD src0_sel:WORD_1 src1_sel:DWORD
	;; [unrolled: 2-line block ×12, first 2 shown]
	v_add_f16_e32 v18, v19, v28
	v_sub_f16_e32 v19, v19, v28
	v_sub_f16_e32 v28, v66, v64
	v_add_f16_e32 v67, v66, v64
	v_mul_f16_e32 v64, 0xba95, v28
	v_fma_f16 v66, v18, s3, -v64
	v_add_f16_e32 v65, v66, v65
	v_mul_f16_e32 v66, 0xba95, v19
	v_fma_f16 v64, v18, s3, v64
	v_fma_f16 v68, v67, s3, v66
	v_add_f16_e32 v60, v64, v60
	v_fma_f16 v64, v67, s3, -v66
	v_mul_f16_e32 v66, 0xbb7b, v28
	v_add_f16_e32 v68, v68, v70
	v_add_f16_e32 v64, v64, v69
	v_fma_f16 v69, v18, s5, -v66
	v_mul_f16_e32 v70, 0xbb7b, v19
	v_fma_f16 v66, v18, s5, v66
	v_add_f16_e32 v69, v69, v72
	v_fma_f16 v72, v67, s5, v70
	v_add_f16_e32 v66, v66, v71
	v_fma_f16 v70, v67, s5, -v70
	v_mul_f16_e32 v71, 0xb3a8, v28
	v_add_f16_e32 v72, v72, v74
	v_add_f16_e32 v70, v70, v73
	v_fma_f16 v73, v18, s15, -v71
	v_mul_f16_e32 v74, 0xb3a8, v19
	v_fma_f16 v71, v18, s15, v71
	v_add_f16_e32 v73, v73, v76
	;; [unrolled: 10-line block ×3, first 2 shown]
	v_fma_f16 v80, v67, s14, v78
	v_add_f16_e32 v75, v75, v79
	v_fma_f16 v78, v67, s14, -v78
	v_mul_f16_e32 v79, 0x3bf1, v28
	v_add_f16_e32 v80, v80, v82
	v_add_f16_e32 v78, v78, v81
	v_fma_f16 v81, v18, s2, -v79
	v_mul_f16_e32 v82, 0x3bf1, v19
	v_add_f16_e32 v81, v81, v84
	v_fma_f16 v84, v67, s2, v82
	v_fma_f16 v82, v67, s2, -v82
	v_mul_f16_e32 v19, 0x3770, v19
	v_fma_f16 v79, v18, s2, v79
	v_add_f16_e32 v82, v82, v85
	v_mul_f16_e32 v28, 0x3770, v28
	v_fma_f16 v85, v67, s4, v19
	v_fma_f16 v19, v67, s4, -v19
	v_add_f16_e32 v79, v79, v83
	v_fma_f16 v83, v18, s4, -v28
	v_fma_f16 v18, v18, s4, v28
	v_add_f16_e32 v17, v19, v17
	v_add_f16_e32 v19, v20, v27
	v_sub_f16_e32 v20, v20, v27
	v_sub_f16_e32 v27, v55, v63
	v_add_f16_e32 v18, v18, v32
	v_mul_f16_e32 v32, 0xbbf1, v27
	v_add_f16_e32 v28, v55, v63
	v_fma_f16 v55, v19, s2, -v32
	v_mul_f16_e32 v63, 0xbbf1, v20
	v_fma_f16 v32, v19, s2, v32
	v_add_f16_e32 v55, v55, v65
	v_fma_f16 v65, v28, s2, v63
	v_add_f16_e32 v32, v32, v60
	v_fma_f16 v60, v28, s2, -v63
	v_mul_f16_e32 v63, 0xb3a8, v27
	v_add_f16_e32 v60, v60, v64
	v_fma_f16 v64, v19, s15, -v63
	v_mul_f16_e32 v67, 0xb3a8, v20
	v_fma_f16 v63, v19, s15, v63
	v_add_f16_e32 v65, v65, v68
	v_fma_f16 v68, v28, s15, v67
	v_add_f16_e32 v63, v63, v66
	v_fma_f16 v66, v28, s15, -v67
	v_mul_f16_e32 v67, 0x3b7b, v27
	v_add_f16_e32 v64, v64, v69
	v_fma_f16 v69, v19, s5, -v67
	v_fma_f16 v67, v19, s5, v67
	v_add_f16_e32 v66, v66, v70
	v_mul_f16_e32 v70, 0x3b7b, v20
	v_add_f16_e32 v67, v67, v71
	v_mul_f16_e32 v71, 0x3770, v27
	v_add_f16_e32 v68, v68, v72
	v_add_f16_e32 v69, v69, v73
	v_fma_f16 v72, v28, s5, v70
	v_fma_f16 v70, v28, s5, -v70
	v_fma_f16 v73, v19, s4, -v71
	v_fma_f16 v71, v19, s4, v71
	v_add_f16_e32 v70, v70, v74
	v_mul_f16_e32 v74, 0x3770, v20
	v_add_f16_e32 v71, v71, v75
	v_mul_f16_e32 v75, 0xba95, v27
	v_add_f16_e32 v72, v72, v76
	v_add_f16_e32 v73, v73, v77
	v_fma_f16 v76, v28, s4, v74
	v_fma_f16 v74, v28, s4, -v74
	v_fma_f16 v77, v19, s3, -v75
	v_fma_f16 v75, v19, s3, v75
	v_mul_f16_e32 v27, 0xb94e, v27
	v_add_f16_e32 v74, v74, v78
	v_mul_f16_e32 v78, 0xba95, v20
	v_add_f16_e32 v75, v75, v79
	v_fma_f16 v79, v19, s14, -v27
	v_mul_f16_e32 v20, 0xb94e, v20
	v_fma_f16 v19, v19, s14, v27
	v_add_f16_e32 v18, v19, v18
	v_fma_f16 v19, v28, s14, -v20
	v_add_f16_e32 v17, v19, v17
	v_add_f16_e32 v19, v21, v26
	v_sub_f16_e32 v21, v21, v26
	v_sub_f16_e32 v26, v56, v62
	v_mul_f16_e32 v27, 0xbb7b, v26
	v_add_f16_e32 v76, v76, v80
	v_add_f16_e32 v77, v77, v81
	v_fma_f16 v80, v28, s3, v78
	v_fma_f16 v78, v28, s3, -v78
	v_fma_f16 v81, v28, s14, v20
	v_fma_f16 v28, v19, s5, -v27
	v_add_f16_e32 v20, v56, v62
	v_add_f16_e32 v28, v28, v55
	v_mul_f16_e32 v55, 0xbb7b, v21
	v_fma_f16 v27, v19, s5, v27
	v_fma_f16 v56, v20, s5, v55
	v_add_f16_e32 v27, v27, v32
	v_fma_f16 v32, v20, s5, -v55
	v_mul_f16_e32 v55, 0x394e, v26
	v_add_f16_e32 v32, v32, v60
	v_fma_f16 v60, v19, s14, -v55
	v_fma_f16 v55, v19, s14, v55
	v_mul_f16_e32 v62, 0x394e, v21
	v_add_f16_e32 v55, v55, v63
	v_mul_f16_e32 v63, 0x3770, v26
	v_add_f16_e32 v56, v56, v65
	v_add_f16_e32 v60, v60, v64
	v_fma_f16 v64, v20, s14, v62
	v_fma_f16 v62, v20, s14, -v62
	v_fma_f16 v65, v19, s4, -v63
	v_fma_f16 v63, v19, s4, v63
	v_add_f16_e32 v62, v62, v66
	v_mul_f16_e32 v66, 0x3770, v21
	v_add_f16_e32 v63, v63, v67
	v_mul_f16_e32 v67, 0xbbf1, v26
	v_add_f16_e32 v64, v64, v68
	v_add_f16_e32 v65, v65, v69
	v_fma_f16 v68, v20, s4, v66
	v_fma_f16 v66, v20, s4, -v66
	v_fma_f16 v69, v19, s2, -v67
	v_fma_f16 v67, v19, s2, v67
	v_add_f16_e32 v66, v66, v70
	v_mul_f16_e32 v70, 0xbbf1, v21
	v_add_f16_e32 v67, v67, v71
	v_mul_f16_e32 v71, 0x33a8, v26
	v_add_f16_e32 v68, v68, v72
	v_add_f16_e32 v69, v69, v73
	v_fma_f16 v72, v20, s2, v70
	v_fma_f16 v70, v20, s2, -v70
	v_fma_f16 v73, v19, s15, -v71
	v_fma_f16 v71, v19, s15, v71
	v_mul_f16_e32 v26, 0x3a95, v26
	v_add_f16_e32 v70, v70, v74
	v_mul_f16_e32 v74, 0x33a8, v21
	v_add_f16_e32 v71, v71, v75
	v_fma_f16 v75, v19, s3, -v26
	v_mul_f16_e32 v21, 0x3a95, v21
	v_fma_f16 v19, v19, s3, v26
	v_add_f16_e32 v18, v19, v18
	v_fma_f16 v19, v20, s3, -v21
	v_add_f16_e32 v73, v73, v77
	v_fma_f16 v77, v20, s3, v21
	v_add_f16_e32 v17, v19, v17
	v_add_f16_e32 v19, v22, v25
	v_sub_f16_e32 v21, v22, v25
	v_sub_f16_e32 v22, v57, v61
	v_mul_f16_e32 v25, 0xb94e, v22
	v_fma_f16 v26, v19, s14, -v25
	v_add_f16_e32 v72, v72, v76
	v_fma_f16 v76, v20, s15, v74
	v_fma_f16 v74, v20, s15, -v74
	v_add_f16_e32 v20, v57, v61
	v_add_f16_e32 v26, v26, v28
	v_mul_f16_e32 v28, 0xb94e, v21
	v_fma_f16 v25, v19, s14, v25
	v_fma_f16 v57, v20, s14, v28
	v_add_f16_e32 v25, v25, v27
	v_fma_f16 v27, v20, s14, -v28
	v_mul_f16_e32 v28, 0x3bf1, v22
	v_add_f16_e32 v56, v57, v56
	v_add_f16_e32 v27, v27, v32
	v_fma_f16 v32, v19, s2, -v28
	v_mul_f16_e32 v57, 0x3bf1, v21
	v_fma_f16 v28, v19, s2, v28
	v_add_f16_e32 v28, v28, v55
	v_fma_f16 v55, v20, s2, -v57
	v_add_f16_e32 v32, v32, v60
	v_fma_f16 v60, v20, s2, v57
	v_add_f16_e32 v57, v55, v62
	v_mul_f16_e32 v55, 0xba95, v22
	v_fma_f16 v61, v19, s3, -v55
	v_add_f16_e32 v62, v61, v65
	v_mul_f16_e32 v61, 0xba95, v21
	v_fma_f16 v55, v19, s3, v55
	v_add_f16_e32 v63, v55, v63
	v_fma_f16 v55, v20, s3, -v61
	v_add_f16_e32 v65, v55, v66
	v_mul_f16_e32 v55, 0x33a8, v22
	v_add_f16_e32 v60, v60, v64
	v_fma_f16 v64, v20, s3, v61
	v_fma_f16 v61, v19, s15, -v55
	v_add_f16_e32 v66, v61, v69
	v_mul_f16_e32 v61, 0x33a8, v21
	v_fma_f16 v55, v19, s15, v55
	v_add_f16_e32 v67, v55, v67
	v_fma_f16 v55, v20, s15, -v61
	v_add_f16_e32 v69, v55, v70
	v_mul_f16_e32 v55, 0x3770, v22
	v_add_f16_e32 v64, v64, v68
	v_fma_f16 v68, v20, s15, v61
	v_fma_f16 v61, v19, s4, -v55
	v_add_f16_e32 v84, v84, v86
	v_add_f16_e32 v83, v83, v87
	;; [unrolled: 1-line block ×4, first 2 shown]
	v_mul_f16_e32 v61, 0x3770, v21
	v_fma_f16 v55, v19, s4, v55
	v_add_f16_e32 v85, v85, v88
	v_add_f16_e32 v80, v80, v84
	;; [unrolled: 1-line block ×5, first 2 shown]
	v_fma_f16 v55, v20, s4, -v61
	v_mul_f16_e32 v22, 0xbb7b, v22
	v_add_f16_e32 v81, v81, v85
	v_add_f16_e32 v76, v76, v80
	;; [unrolled: 1-line block ×4, first 2 shown]
	v_fma_f16 v72, v20, s4, v61
	v_add_f16_e32 v73, v55, v74
	v_fma_f16 v55, v19, s5, -v22
	v_mul_f16_e32 v21, 0xbb7b, v21
	v_fma_f16 v19, v19, s5, v22
	v_add_f16_e32 v77, v77, v81
	v_add_f16_e32 v72, v72, v76
	;; [unrolled: 1-line block ×3, first 2 shown]
	v_fma_f16 v55, v20, s5, v21
	v_add_f16_e32 v76, v19, v18
	v_fma_f16 v18, v20, s5, -v21
	v_add_f16_e32 v78, v23, v24
	v_sub_f16_e32 v80, v23, v24
	v_sub_f16_e32 v24, v58, v59
	v_add_f16_e32 v75, v55, v77
	v_add_f16_e32 v77, v18, v17
	;; [unrolled: 1-line block ×3, first 2 shown]
	v_mul_f16_e32 v18, 0xb3a8, v24
	v_mul_f16_e32 v19, 0xb3a8, v80
	v_fma_f16 v17, v78, s15, -v18
	v_fma_f16 v20, v79, s15, v19
	v_fma_f16 v18, v78, s15, v18
	v_add_f16_e32 v55, v20, v56
	v_add_f16_e32 v22, v18, v25
	v_fma_f16 v18, v79, s15, -v19
	v_mul_f16_e32 v19, 0x3770, v24
	v_mul_f16_e32 v20, 0x3770, v80
	v_add_f16_e32 v59, v18, v27
	v_fma_f16 v18, v78, s4, -v19
	v_fma_f16 v21, v79, s4, v20
	v_fma_f16 v19, v78, s4, v19
	v_add_f16_e32 v56, v21, v60
	v_add_f16_e32 v21, v19, v28
	v_fma_f16 v19, v79, s4, -v20
	v_mul_f16_e32 v20, 0xb94e, v24
	v_add_f16_e32 v61, v19, v57
	v_fma_f16 v19, v78, s14, -v20
	v_mul_f16_e32 v23, 0xb94e, v80
	v_fma_f16 v20, v78, s14, v20
	v_add_f16_e32 v17, v17, v26
	v_fma_f16 v25, v79, s14, v23
	v_add_f16_e32 v26, v20, v63
	v_fma_f16 v20, v79, s14, -v23
	v_mul_f16_e32 v23, 0x3a95, v24
	v_mul_f16_e32 v27, 0x3a95, v80
	v_add_f16_e32 v19, v19, v62
	v_add_f16_e32 v57, v25, v64
	;; [unrolled: 1-line block ×3, first 2 shown]
	v_fma_f16 v20, v78, s3, -v23
	v_fma_f16 v25, v79, s3, v27
	v_fma_f16 v23, v78, s3, v23
	v_add_f16_e32 v18, v18, v32
	v_add_f16_e32 v58, v25, v68
	;; [unrolled: 1-line block ×3, first 2 shown]
	v_fma_f16 v23, v79, s3, -v27
	v_mul_f16_e32 v27, 0xbb7b, v24
	v_mul_f16_e32 v32, 0xbb7b, v80
	v_add_f16_e32 v63, v23, v69
	v_fma_f16 v23, v78, s5, -v27
	v_fma_f16 v28, v79, s5, v32
	v_fma_f16 v27, v78, s5, v27
	v_add_f16_e32 v60, v28, v72
	v_add_f16_e32 v28, v27, v71
	v_fma_f16 v27, v79, s5, -v32
	v_mul_f16_e32 v32, 0x3bf1, v80
	v_fma_f16 v64, v79, s2, v32
	v_fma_f16 v32, v79, s2, -v32
	v_add_f16_e32 v20, v20, v66
	v_add_f16_e32 v65, v27, v73
	v_mul_f16_e32 v27, 0x3bf1, v24
	v_add_f16_e32 v66, v32, v77
	v_lshl_add_u32 v32, v29, 2, v31
	v_pack_b32_f16 v67, v53, v54
	v_fma_f16 v24, v78, s2, -v27
	ds_write_b32 v32, v67
	v_pack_b32_f16 v67, v17, v55
	v_pack_b32_f16 v68, v18, v56
	v_add_f16_e32 v23, v23, v70
	v_add_f16_e32 v24, v24, v74
	;; [unrolled: 1-line block ×3, first 2 shown]
	v_fma_f16 v27, v78, s2, v27
	ds_write2_b32 v32, v67, v68 offset0:34 offset1:68
	v_pack_b32_f16 v67, v19, v57
	v_pack_b32_f16 v68, v20, v58
	v_add_f16_e32 v27, v27, v76
	ds_write2_b32 v32, v67, v68 offset0:102 offset1:136
	v_pack_b32_f16 v67, v23, v60
	v_pack_b32_f16 v68, v24, v64
	ds_write2_b32 v32, v67, v68 offset0:170 offset1:204
	v_pack_b32_f16 v67, v27, v66
	v_pack_b32_f16 v69, v28, v65
	v_add_u32_e32 v68, 0x200, v32
	ds_write2_b32 v68, v67, v69 offset0:110 offset1:144
	v_pack_b32_f16 v69, v25, v63
	v_pack_b32_f16 v70, v26, v62
	v_add_u32_e32 v67, 0x400, v32
	ds_write2_b32 v67, v69, v70 offset0:50 offset1:84
	v_pack_b32_f16 v69, v21, v61
	v_pack_b32_f16 v70, v22, v59
	ds_write2_b32 v67, v69, v70 offset0:118 offset1:152
	s_waitcnt lgkmcnt(0)
	s_barrier
	s_and_saveexec_b64 s[2:3], vcc
	s_cbranch_execz .LBB0_13
; %bb.12:
	global_load_dword v69, v30, s[6:7] offset:1768
	s_add_u32 s4, s6, 0x6e8
	s_addc_u32 s5, s7, 0
	global_load_dword v81, v30, s[4:5] offset:104
	global_load_dword v82, v30, s[4:5] offset:208
	;; [unrolled: 1-line block ×10, first 2 shown]
	ds_read_b32 v70, v32
	global_load_dword v91, v30, s[4:5] offset:1144
	global_load_dword v92, v30, s[4:5] offset:1248
	;; [unrolled: 1-line block ×6, first 2 shown]
	s_waitcnt lgkmcnt(0)
	v_lshrrev_b32_e32 v71, 16, v70
	s_waitcnt vmcnt(16)
	v_mul_f16_sdwa v72, v71, v69 dst_sel:DWORD dst_unused:UNUSED_PAD src0_sel:DWORD src1_sel:WORD_1
	v_mul_f16_sdwa v73, v70, v69 dst_sel:DWORD dst_unused:UNUSED_PAD src0_sel:DWORD src1_sel:WORD_1
	v_fma_f16 v70, v70, v69, -v72
	v_fma_f16 v69, v71, v69, v73
	v_pack_b32_f16 v69, v70, v69
	ds_write_b32 v32, v69
	ds_read2_b32 v[69:70], v32 offset0:26 offset1:52
	ds_read2_b32 v[71:72], v32 offset0:78 offset1:104
	;; [unrolled: 1-line block ×6, first 2 shown]
	s_waitcnt lgkmcnt(5)
	v_lshrrev_b32_e32 v97, 16, v69
	s_waitcnt vmcnt(15)
	v_mul_f16_sdwa v98, v69, v81 dst_sel:DWORD dst_unused:UNUSED_PAD src0_sel:DWORD src1_sel:WORD_1
	v_lshrrev_b32_e32 v99, 16, v70
	s_waitcnt vmcnt(14)
	v_mul_f16_sdwa v100, v70, v82 dst_sel:DWORD dst_unused:UNUSED_PAD src0_sel:DWORD src1_sel:WORD_1
	s_waitcnt lgkmcnt(4)
	v_lshrrev_b32_e32 v101, 16, v71
	s_waitcnt vmcnt(13)
	v_mul_f16_sdwa v102, v71, v83 dst_sel:DWORD dst_unused:UNUSED_PAD src0_sel:DWORD src1_sel:WORD_1
	v_lshrrev_b32_e32 v103, 16, v72
	s_waitcnt vmcnt(12)
	v_mul_f16_sdwa v104, v72, v84 dst_sel:DWORD dst_unused:UNUSED_PAD src0_sel:DWORD src1_sel:WORD_1
	;; [unrolled: 7-line block ×3, first 2 shown]
	s_waitcnt lgkmcnt(2)
	v_lshrrev_b32_e32 v109, 16, v75
	s_waitcnt vmcnt(9)
	v_mul_f16_sdwa v110, v75, v87 dst_sel:DWORD dst_unused:UNUSED_PAD src0_sel:DWORD src1_sel:WORD_1
	v_lshrrev_b32_e32 v111, 16, v76
	v_mul_f16_sdwa v116, v97, v81 dst_sel:DWORD dst_unused:UNUSED_PAD src0_sel:DWORD src1_sel:WORD_1
	v_fma_f16 v97, v97, v81, v98
	v_mul_f16_sdwa v98, v99, v82 dst_sel:DWORD dst_unused:UNUSED_PAD src0_sel:DWORD src1_sel:WORD_1
	s_waitcnt vmcnt(8)
	v_mul_f16_sdwa v112, v76, v88 dst_sel:DWORD dst_unused:UNUSED_PAD src0_sel:DWORD src1_sel:WORD_1
	v_fma_f16 v99, v99, v82, v100
	v_mul_f16_sdwa v100, v101, v83 dst_sel:DWORD dst_unused:UNUSED_PAD src0_sel:DWORD src1_sel:WORD_1
	v_fma_f16 v101, v101, v83, v102
	;; [unrolled: 2-line block ×6, first 2 shown]
	v_mul_f16_sdwa v110, v111, v88 dst_sel:DWORD dst_unused:UNUSED_PAD src0_sel:DWORD src1_sel:WORD_1
	v_fma_f16 v69, v69, v81, -v116
	v_fma_f16 v70, v70, v82, -v98
	s_waitcnt lgkmcnt(1)
	v_lshrrev_b32_e32 v113, 16, v77
	s_waitcnt vmcnt(7)
	v_mul_f16_sdwa v114, v77, v89 dst_sel:DWORD dst_unused:UNUSED_PAD src0_sel:DWORD src1_sel:WORD_1
	v_lshrrev_b32_e32 v115, 16, v78
	v_fma_f16 v111, v111, v88, v112
	v_fma_f16 v71, v71, v83, -v100
	v_fma_f16 v72, v72, v84, -v102
	v_fma_f16 v73, v73, v85, -v104
	v_fma_f16 v74, v74, v86, -v106
	v_fma_f16 v75, v75, v87, -v108
	v_fma_f16 v76, v76, v88, -v110
	v_pack_b32_f16 v69, v69, v97
	v_pack_b32_f16 v70, v70, v99
	v_mul_f16_sdwa v112, v113, v89 dst_sel:DWORD dst_unused:UNUSED_PAD src0_sel:DWORD src1_sel:WORD_1
	v_fma_f16 v113, v113, v89, v114
	s_waitcnt vmcnt(6)
	v_mul_f16_sdwa v114, v115, v90 dst_sel:DWORD dst_unused:UNUSED_PAD src0_sel:DWORD src1_sel:WORD_1
	v_pack_b32_f16 v71, v71, v101
	v_pack_b32_f16 v72, v72, v103
	;; [unrolled: 1-line block ×6, first 2 shown]
	ds_write2_b32 v32, v69, v70 offset0:26 offset1:52
	ds_write2_b32 v32, v71, v72 offset0:78 offset1:104
	;; [unrolled: 1-line block ×4, first 2 shown]
	v_mul_f16_sdwa v69, v78, v90 dst_sel:DWORD dst_unused:UNUSED_PAD src0_sel:DWORD src1_sel:WORD_1
	v_fma_f16 v77, v77, v89, -v112
	v_fma_f16 v81, v78, v90, -v114
	v_fma_f16 v69, v115, v90, v69
	v_pack_b32_f16 v77, v77, v113
	v_pack_b32_f16 v69, v81, v69
	ds_write2_b32 v68, v77, v69 offset0:106 offset1:132
	s_waitcnt lgkmcnt(5)
	v_lshrrev_b32_e32 v68, 16, v79
	s_waitcnt vmcnt(5)
	v_mul_f16_sdwa v69, v68, v91 dst_sel:DWORD dst_unused:UNUSED_PAD src0_sel:DWORD src1_sel:WORD_1
	v_mul_f16_sdwa v70, v79, v91 dst_sel:DWORD dst_unused:UNUSED_PAD src0_sel:DWORD src1_sel:WORD_1
	v_fma_f16 v69, v79, v91, -v69
	v_fma_f16 v68, v68, v91, v70
	v_lshrrev_b32_e32 v71, 16, v80
	v_pack_b32_f16 v70, v69, v68
	s_waitcnt vmcnt(4)
	v_mul_f16_sdwa v68, v71, v92 dst_sel:DWORD dst_unused:UNUSED_PAD src0_sel:DWORD src1_sel:WORD_1
	v_fma_f16 v72, v80, v92, -v68
	ds_read2_b32 v[68:69], v67 offset0:82 offset1:108
	v_mul_f16_sdwa v73, v80, v92 dst_sel:DWORD dst_unused:UNUSED_PAD src0_sel:DWORD src1_sel:WORD_1
	v_fma_f16 v71, v71, v92, v73
	v_pack_b32_f16 v71, v72, v71
	ds_write2_b32 v67, v70, v71 offset0:30 offset1:56
	s_waitcnt lgkmcnt(1)
	v_lshrrev_b32_e32 v70, 16, v68
	s_waitcnt vmcnt(3)
	v_mul_f16_sdwa v71, v70, v93 dst_sel:DWORD dst_unused:UNUSED_PAD src0_sel:DWORD src1_sel:WORD_1
	v_fma_f16 v71, v68, v93, -v71
	v_mul_f16_sdwa v68, v68, v93 dst_sel:DWORD dst_unused:UNUSED_PAD src0_sel:DWORD src1_sel:WORD_1
	v_lshrrev_b32_e32 v72, 16, v69
	v_fma_f16 v68, v70, v93, v68
	s_waitcnt vmcnt(2)
	v_mul_f16_sdwa v70, v72, v94 dst_sel:DWORD dst_unused:UNUSED_PAD src0_sel:DWORD src1_sel:WORD_1
	v_pack_b32_f16 v68, v71, v68
	v_fma_f16 v73, v69, v94, -v70
	ds_read2_b32 v[70:71], v67 offset0:134 offset1:160
	v_mul_f16_sdwa v69, v69, v94 dst_sel:DWORD dst_unused:UNUSED_PAD src0_sel:DWORD src1_sel:WORD_1
	v_fma_f16 v69, v72, v94, v69
	v_pack_b32_f16 v69, v73, v69
	ds_write2_b32 v67, v68, v69 offset0:82 offset1:108
	s_waitcnt lgkmcnt(1)
	v_lshrrev_b32_e32 v68, 16, v70
	s_waitcnt vmcnt(1)
	v_mul_f16_sdwa v69, v68, v95 dst_sel:DWORD dst_unused:UNUSED_PAD src0_sel:DWORD src1_sel:WORD_1
	v_fma_f16 v69, v70, v95, -v69
	v_mul_f16_sdwa v70, v70, v95 dst_sel:DWORD dst_unused:UNUSED_PAD src0_sel:DWORD src1_sel:WORD_1
	v_fma_f16 v68, v68, v95, v70
	v_pack_b32_f16 v68, v69, v68
	v_lshrrev_b32_e32 v69, 16, v71
	s_waitcnt vmcnt(0)
	v_mul_f16_sdwa v70, v69, v96 dst_sel:DWORD dst_unused:UNUSED_PAD src0_sel:DWORD src1_sel:WORD_1
	v_fma_f16 v70, v71, v96, -v70
	v_mul_f16_sdwa v71, v71, v96 dst_sel:DWORD dst_unused:UNUSED_PAD src0_sel:DWORD src1_sel:WORD_1
	v_fma_f16 v69, v69, v96, v71
	v_pack_b32_f16 v69, v70, v69
	ds_write2_b32 v67, v68, v69 offset0:134 offset1:160
.LBB0_13:
	s_or_b64 exec, exec, s[2:3]
	s_waitcnt lgkmcnt(0)
	s_barrier
	s_and_saveexec_b64 s[2:3], vcc
	s_cbranch_execz .LBB0_15
; %bb.14:
	v_add_u32_e32 v13, 0x200, v32
	ds_read_b32 v53, v32
	ds_read2_b32 v[17:18], v32 offset0:26 offset1:52
	ds_read2_b32 v[19:20], v32 offset0:78 offset1:104
	;; [unrolled: 1-line block ×4, first 2 shown]
	v_add_u32_e32 v13, 0x400, v32
	ds_read2_b32 v[27:28], v32 offset0:182 offset1:208
	ds_read2_b32 v[21:22], v13 offset0:30 offset1:56
	;; [unrolled: 1-line block ×4, first 2 shown]
	s_waitcnt lgkmcnt(8)
	v_lshrrev_b32_e32 v54, 16, v53
	s_waitcnt lgkmcnt(7)
	v_lshrrev_b32_e32 v55, 16, v17
	v_lshrrev_b32_e32 v56, 16, v18
	s_waitcnt lgkmcnt(6)
	v_lshrrev_b32_e32 v57, 16, v19
	;; [unrolled: 3-line block ×4, first 2 shown]
	v_lshrrev_b32_e32 v65, 16, v28
	v_lshrrev_b32_e32 v63, 16, v25
	;; [unrolled: 1-line block ×3, first 2 shown]
	s_waitcnt lgkmcnt(2)
	v_lshrrev_b32_e32 v61, 16, v21
	v_lshrrev_b32_e32 v59, 16, v22
	s_waitcnt lgkmcnt(1)
	v_lshrrev_b32_e32 v52, 16, v15
	v_lshrrev_b32_e32 v35, 16, v16
	;; [unrolled: 3-line block ×3, first 2 shown]
.LBB0_15:
	s_or_b64 exec, exec, s[2:3]
	v_sub_f16_e32 v87, v55, v36
	v_add_f16_e32 v71, v14, v17
	v_add_f16_e32 v89, v36, v55
	s_movk_i32 s4, 0x2de8
	v_mul_f16_e32 v106, 0xbbf7, v87
	v_sub_f16_e32 v88, v56, v34
	v_sub_f16_e32 v72, v17, v14
	s_mov_b32 s15, 0xbbf7
	v_mul_f16_e32 v107, 0x2de8, v89
	v_fma_f16 v67, v71, s4, -v106
	v_add_f16_e32 v73, v13, v18
	v_add_f16_e32 v91, v34, v56
	s_mov_b32 s14, 0xbbdd
	v_mul_f16_e32 v108, 0xb1e1, v88
	v_add_f16_e32 v67, v53, v67
	v_fma_f16 v68, v72, s15, v107
	s_mov_b32 s5, 0xb461
	v_mul_f16_e32 v111, 0xbbb2, v87
	v_sub_f16_e32 v74, v18, v13
	s_mov_b32 s18, 0xb1e1
	v_mul_f16_e32 v109, 0xbbdd, v91
	v_fma_f16 v75, v73, s14, -v108
	v_add_f16_e32 v68, v54, v68
	s_mov_b32 s17, 0xbbb2
	v_mul_f16_e32 v114, 0xb461, v89
	v_fma_f16 v69, v71, s5, -v111
	v_add_f16_e32 v67, v75, v67
	v_fma_f16 v75, v74, s18, v109
	s_mov_b32 s16, 0xbacd
	v_mul_f16_e32 v115, 0x3836, v88
	v_add_f16_e32 v69, v53, v69
	v_fma_f16 v70, v72, s17, v114
	v_add_f16_e32 v68, v75, v68
	s_movk_i32 s22, 0x3836
	v_mul_f16_e32 v118, 0xbacd, v91
	v_fma_f16 v75, v73, s16, -v115
	v_add_f16_e32 v70, v54, v70
	v_add_f16_e32 v69, v75, v69
	v_fma_f16 v75, v74, s22, v118
	v_sub_f16_e32 v90, v57, v35
	v_add_f16_e32 v70, v75, v70
	v_add_f16_e32 v75, v16, v19
	;; [unrolled: 1-line block ×3, first 2 shown]
	v_mul_f16_e32 v110, 0x3bb2, v90
	v_sub_f16_e32 v77, v19, v16
	s_movk_i32 s23, 0x3bb2
	v_mul_f16_e32 v112, 0xb461, v94
	v_fma_f16 v76, v75, s5, -v110
	v_add_f16_e32 v67, v76, v67
	v_fma_f16 v76, v77, s23, v112
	s_movk_i32 s19, 0x39e9
	v_mul_f16_e32 v119, 0x3964, v90
	v_add_f16_e32 v68, v76, v68
	s_movk_i32 s28, 0x3964
	v_mul_f16_e32 v122, 0x39e9, v94
	v_fma_f16 v76, v75, s19, -v119
	v_add_f16_e32 v69, v76, v69
	v_fma_f16 v76, v77, s28, v122
	v_sub_f16_e32 v93, v58, v52
	v_add_f16_e32 v70, v76, v70
	v_add_f16_e32 v76, v15, v20
	;; [unrolled: 1-line block ×3, first 2 shown]
	s_movk_i32 s20, 0x3b76
	v_mul_f16_e32 v113, 0x35c8, v93
	v_sub_f16_e32 v78, v20, v15
	s_movk_i32 s25, 0x35c8
	v_mul_f16_e32 v117, 0x3b76, v97
	v_fma_f16 v79, v76, s20, -v113
	v_add_f16_e32 v67, v79, v67
	v_fma_f16 v79, v78, s25, v117
	s_movk_i32 s21, 0x3722
	v_mul_f16_e32 v123, 0xbb29, v93
	v_add_f16_e32 v68, v79, v68
	s_mov_b32 s24, 0xbb29
	v_mul_f16_e32 v127, 0x3722, v97
	v_fma_f16 v79, v76, s21, -v123
	v_add_f16_e32 v69, v79, v69
	v_fma_f16 v79, v78, s24, v127
	v_sub_f16_e32 v95, v60, v59
	v_add_f16_e32 v70, v79, v70
	v_add_f16_e32 v79, v22, v23
	;; [unrolled: 1-line block ×3, first 2 shown]
	v_mul_f16_e32 v116, 0xbb29, v95
	v_sub_f16_e32 v81, v23, v22
	v_mul_f16_e32 v121, 0x3722, v99
	v_fma_f16 v80, v79, s21, -v116
	v_add_f16_e32 v67, v80, v67
	v_fma_f16 v80, v81, s24, v121
	v_mul_f16_e32 v126, 0xb1e1, v95
	v_add_f16_e32 v68, v80, v68
	v_mul_f16_e32 v131, 0xbbdd, v99
	v_fma_f16 v80, v79, s14, -v126
	v_add_f16_e32 v69, v80, v69
	v_fma_f16 v80, v81, s18, v131
	v_sub_f16_e32 v98, v64, v61
	v_add_f16_e32 v70, v80, v70
	v_add_f16_e32 v80, v21, v24
	;; [unrolled: 1-line block ×3, first 2 shown]
	v_mul_f16_e32 v120, 0xb836, v98
	v_sub_f16_e32 v83, v24, v21
	s_mov_b32 s26, 0xb836
	v_mul_f16_e32 v124, 0xbacd, v102
	v_fma_f16 v82, v80, s16, -v120
	v_add_f16_e32 v67, v82, v67
	v_fma_f16 v82, v83, s26, v124
	v_mul_f16_e32 v130, 0x3bf7, v98
	v_add_f16_e32 v68, v82, v68
	s_movk_i32 s34, 0x3bf7
	v_mul_f16_e32 v133, 0x2de8, v102
	v_fma_f16 v82, v80, s4, -v130
	v_add_f16_e32 v69, v82, v69
	v_fma_f16 v82, v83, s34, v133
	v_sub_f16_e32 v101, v66, v62
	v_add_f16_e32 v70, v82, v70
	v_add_f16_e32 v82, v26, v27
	;; [unrolled: 1-line block ×3, first 2 shown]
	s_mov_b32 s27, 0xb8d2
	v_mul_f16_e32 v125, 0x3a62, v101
	v_sub_f16_e32 v85, v27, v26
	s_movk_i32 s35, 0x3a62
	v_mul_f16_e32 v129, 0xb8d2, v104
	v_fma_f16 v84, v82, s27, -v125
	v_add_f16_e32 v67, v84, v67
	v_fma_f16 v84, v85, s35, v129
	v_mul_f16_e32 v134, 0xb5c8, v101
	v_add_f16_e32 v68, v84, v68
	v_mul_f16_e32 v136, 0x3b76, v104
	v_fma_f16 v84, v82, s20, -v134
	v_add_f16_e32 v69, v84, v69
	v_fma_f16 v84, v85, s29, v136
	v_sub_f16_e32 v103, v65, v63
	v_add_f16_e32 v70, v84, v70
	v_add_f16_e32 v84, v25, v28
	;; [unrolled: 1-line block ×3, first 2 shown]
	v_mul_f16_e32 v128, 0x3964, v103
	v_sub_f16_e32 v86, v28, v25
	v_mul_f16_e32 v132, 0x39e9, v105
	v_fma_f16 v92, v84, s19, -v128
	v_add_f16_e32 v67, v92, v67
	v_fma_f16 v92, v86, s28, v132
	v_mul_f16_e32 v135, 0xba62, v103
	v_add_f16_e32 v68, v92, v68
	s_mov_b32 s30, 0xba62
	v_mul_f16_e32 v137, 0xb8d2, v105
	v_fma_f16 v92, v84, s27, -v135
	v_add_f16_e32 v69, v92, v69
	v_fma_f16 v92, v86, s30, v137
	v_add_f16_e32 v70, v92, v70
	s_barrier
	s_and_saveexec_b64 s[2:3], vcc
	s_cbranch_execz .LBB0_17
; %bb.16:
	v_mul_f16_e32 v138, 0x2de8, v71
	v_mul_f16_e32 v139, 0xbbf7, v72
	;; [unrolled: 1-line block ×3, first 2 shown]
	v_add_f16_e32 v106, v138, v106
	v_mul_f16_e32 v143, 0xb1e1, v74
	v_mul_f16_e32 v146, 0xb461, v75
	v_sub_f16_e32 v107, v107, v139
	v_add_f16_e32 v106, v53, v106
	v_add_f16_e32 v108, v142, v108
	v_mul_f16_e32 v147, 0x3bb2, v77
	v_mul_f16_e32 v150, 0x3b76, v76
	v_add_f16_e32 v107, v54, v107
	v_sub_f16_e32 v109, v109, v143
	v_add_f16_e32 v106, v108, v106
	v_add_f16_e32 v108, v146, v110
	v_mul_f16_e32 v151, 0x35c8, v78
	v_mul_f16_e32 v154, 0x3722, v79
	v_add_f16_e32 v107, v109, v107
	v_sub_f16_e32 v109, v112, v147
	v_add_f16_e32 v106, v108, v106
	v_add_f16_e32 v108, v150, v113
	v_mul_f16_e32 v155, 0xbb29, v81
	v_mul_f16_e32 v158, 0xbacd, v80
	v_add_f16_e32 v107, v109, v107
	v_sub_f16_e32 v109, v117, v151
	v_add_f16_e32 v106, v108, v106
	v_add_f16_e32 v108, v154, v116
	v_mul_f16_e32 v140, 0xb461, v71
	v_mul_f16_e32 v159, 0xb836, v83
	;; [unrolled: 1-line block ×3, first 2 shown]
	v_add_f16_e32 v107, v109, v107
	v_sub_f16_e32 v109, v121, v155
	v_add_f16_e32 v106, v108, v106
	v_add_f16_e32 v108, v158, v120
	v_mul_f16_e32 v144, 0xbacd, v73
	v_mul_f16_e32 v163, 0x3a62, v85
	;; [unrolled: 1-line block ×3, first 2 shown]
	v_add_f16_e32 v111, v140, v111
	v_add_f16_e32 v107, v109, v107
	v_sub_f16_e32 v109, v124, v159
	v_add_f16_e32 v106, v108, v106
	v_add_f16_e32 v108, v162, v125
	v_mul_f16_e32 v148, 0x39e9, v75
	v_mul_f16_e32 v167, 0x3964, v86
	v_add_f16_e32 v111, v53, v111
	v_add_f16_e32 v115, v144, v115
	;; [unrolled: 1-line block ×3, first 2 shown]
	v_sub_f16_e32 v109, v129, v163
	v_add_f16_e32 v106, v108, v106
	v_add_f16_e32 v108, v166, v128
	v_mul_f16_e32 v152, 0x3722, v76
	v_mul_f16_e32 v170, 0xba62, v72
	s_movk_i32 s33, 0x3b29
	v_add_f16_e32 v111, v115, v111
	v_add_f16_e32 v115, v148, v119
	;; [unrolled: 1-line block ×3, first 2 shown]
	v_sub_f16_e32 v109, v132, v167
	v_add_f16_e32 v106, v108, v106
	v_mul_f16_e32 v108, 0x3722, v89
	v_mul_f16_e32 v156, 0xbbdd, v79
	v_fma_f16 v92, v89, s27, v170
	v_mul_f16_e32 v171, 0x3bb2, v74
	v_add_f16_e32 v111, v115, v111
	v_add_f16_e32 v115, v152, v123
	;; [unrolled: 1-line block ×3, first 2 shown]
	v_fma_f16 v109, v72, s33, v108
	v_mul_f16_e32 v110, 0xb8d2, v91
	v_mul_f16_e32 v160, 0x2de8, v80
	v_add_f16_e32 v92, v54, v92
	v_fma_f16 v96, v91, s5, v171
	v_mul_f16_e32 v172, 0xb5c8, v77
	v_add_f16_e32 v111, v115, v111
	v_add_f16_e32 v115, v156, v126
	;; [unrolled: 1-line block ×3, first 2 shown]
	v_fma_f16 v112, v74, s35, v110
	v_mul_f16_e32 v141, 0xbbb2, v72
	v_mul_f16_e32 v164, 0x3b76, v82
	v_add_f16_e32 v92, v96, v92
	v_fma_f16 v96, v94, s20, v172
	v_mul_f16_e32 v173, 0xb836, v78
	v_add_f16_e32 v111, v115, v111
	v_add_f16_e32 v115, v160, v130
	;; [unrolled: 1-line block ×3, first 2 shown]
	v_mul_f16_e32 v112, 0xbbdd, v94
	v_mul_f16_e32 v145, 0x3836, v74
	;; [unrolled: 1-line block ×3, first 2 shown]
	v_add_f16_e32 v92, v96, v92
	v_fma_f16 v96, v97, s16, v173
	v_mul_f16_e32 v174, 0x3bf7, v81
	v_sub_f16_e32 v114, v114, v141
	v_add_f16_e32 v111, v115, v111
	v_add_f16_e32 v115, v164, v134
	v_fma_f16 v113, v77, s18, v112
	v_mul_f16_e32 v149, 0x3964, v77
	v_add_f16_e32 v92, v96, v92
	v_fma_f16 v96, v99, s4, v174
	v_mul_f16_e32 v175, 0xb964, v83
	v_add_f16_e32 v114, v54, v114
	v_sub_f16_e32 v118, v118, v145
	v_add_f16_e32 v111, v115, v111
	v_add_f16_e32 v115, v168, v135
	;; [unrolled: 1-line block ×3, first 2 shown]
	v_mul_f16_e32 v113, 0xb461, v97
	v_mul_f16_e32 v153, 0xbb29, v78
	v_add_f16_e32 v92, v96, v92
	v_fma_f16 v96, v102, s19, v175
	v_mul_f16_e32 v176, 0xb1e1, v85
	v_add_f16_e32 v114, v118, v114
	v_sub_f16_e32 v118, v122, v149
	v_add_f16_e32 v111, v115, v111
	v_fma_f16 v115, v78, s17, v113
	v_mul_f16_e32 v157, 0xb1e1, v81
	s_mov_b32 s31, 0xb964
	v_add_f16_e32 v92, v96, v92
	v_fma_f16 v96, v104, s14, v176
	v_mul_f16_e32 v177, 0x3b29, v86
	v_add_f16_e32 v114, v118, v114
	v_sub_f16_e32 v118, v127, v153
	v_add_f16_e32 v109, v115, v109
	v_mul_f16_e32 v115, 0x39e9, v99
	v_mul_f16_e32 v161, 0x3bf7, v83
	v_add_f16_e32 v92, v96, v92
	v_fma_f16 v96, v105, s21, v177
	v_mul_f16_e32 v178, 0xba62, v87
	v_add_f16_e32 v114, v118, v114
	v_sub_f16_e32 v118, v131, v157
	v_fma_f16 v116, v81, s31, v115
	v_mul_f16_e32 v165, 0xb5c8, v85
	v_add_f16_e32 v92, v96, v92
	v_fma_f16 v96, v71, s27, -v178
	v_mul_f16_e32 v179, 0x3bb2, v88
	v_add_f16_e32 v114, v118, v114
	v_sub_f16_e32 v118, v133, v161
	v_add_f16_e32 v109, v116, v109
	v_mul_f16_e32 v116, 0x3b76, v102
	v_mul_f16_e32 v169, 0xba62, v86
	v_add_f16_e32 v96, v53, v96
	v_fma_f16 v100, v73, s5, -v179
	v_mul_f16_e32 v180, 0xb5c8, v90
	v_add_f16_e32 v114, v118, v114
	v_sub_f16_e32 v118, v136, v165
	v_fma_f16 v117, v83, s25, v116
	v_add_f16_e32 v96, v100, v96
	v_fma_f16 v100, v75, s20, -v180
	v_mul_f16_e32 v181, 0xb836, v93
	v_add_f16_e32 v114, v118, v114
	v_sub_f16_e32 v118, v137, v169
	v_add_f16_e32 v109, v117, v109
	v_mul_f16_e32 v117, 0x2de8, v104
	v_add_f16_e32 v96, v100, v96
	v_fma_f16 v100, v76, s16, -v181
	v_mul_f16_e32 v182, 0x3bf7, v95
	v_add_f16_e32 v114, v118, v114
	v_fma_f16 v118, v85, s34, v117
	v_add_f16_e32 v96, v100, v96
	v_fma_f16 v100, v79, s4, -v182
	v_mul_f16_e32 v183, 0xb964, v98
	v_add_f16_e32 v109, v118, v109
	v_mul_f16_e32 v118, 0xbacd, v105
	v_add_f16_e32 v96, v100, v96
	v_fma_f16 v100, v80, s19, -v183
	v_mul_f16_e32 v184, 0xb1e1, v101
	v_fma_f16 v119, v86, s22, v118
	v_add_f16_e32 v96, v100, v96
	v_fma_f16 v100, v82, s14, -v184
	v_mul_f16_e32 v185, 0x3b29, v103
	v_add_f16_e32 v109, v119, v109
	v_mul_f16_e32 v119, 0xbb29, v87
	v_add_f16_e32 v17, v17, v53
	v_add_f16_e32 v96, v100, v96
	v_fma_f16 v100, v84, s21, -v185
	v_mul_f16_e32 v186, 0xb836, v72
	v_fma_f16 v120, v71, s21, v119
	v_mul_f16_e32 v121, 0xba62, v88
	v_add_f16_e32 v17, v18, v17
	v_add_f16_e32 v96, v100, v96
	v_fma_f16 v100, v89, s16, v186
	v_mul_f16_e32 v187, 0x3b29, v74
	v_add_f16_e32 v120, v53, v120
	v_fma_f16 v122, v73, s27, v121
	v_add_f16_e32 v17, v19, v17
	v_add_f16_e32 v100, v54, v100
	v_fma_f16 v188, v91, s21, v187
	v_add_f16_e32 v120, v122, v120
	v_mul_f16_e32 v122, 0x31e1, v90
	v_add_f16_e32 v17, v20, v17
	v_add_f16_e32 v100, v188, v100
	v_mul_f16_e32 v188, 0xbbf7, v77
	v_fma_f16 v123, v75, s14, v122
	v_add_f16_e32 v17, v23, v17
	v_fma_f16 v189, v94, s4, v188
	v_add_f16_e32 v120, v123, v120
	v_mul_f16_e32 v123, 0x3bb2, v93
	v_add_f16_e32 v17, v24, v17
	v_add_f16_e32 v100, v189, v100
	v_mul_f16_e32 v189, 0x3a62, v78
	v_fma_f16 v124, v76, s5, v123
	;; [unrolled: 8-line block ×6, first 2 shown]
	v_add_f16_e32 v13, v13, v15
	v_fma_f16 v15, v72, s24, v108
	v_fma_f16 v194, v105, s5, v193
	s_movk_i32 s36, 0x31e1
	v_add_f16_e32 v120, v128, v120
	v_mul_f16_e32 v128, 0x39e9, v89
	v_add_f16_e32 v15, v54, v15
	v_fma_f16 v16, v74, s30, v110
	v_add_f16_e32 v100, v194, v100
	v_mul_f16_e32 v194, 0xb836, v87
	v_fma_f16 v129, v72, s28, v128
	v_mul_f16_e32 v130, 0x2de8, v91
	v_add_f16_e32 v15, v16, v15
	v_fma_f16 v16, v77, s36, v112
	v_fma_f16 v195, v71, s16, -v194
	v_mul_f16_e32 v196, 0x3b29, v88
	v_add_f16_e32 v129, v54, v129
	v_fma_f16 v131, v74, s34, v130
	v_add_f16_e32 v15, v16, v15
	v_fma_f16 v16, v78, s23, v113
	v_add_f16_e32 v195, v53, v195
	v_fma_f16 v197, v73, s21, -v196
	v_add_f16_e32 v129, v131, v129
	v_mul_f16_e32 v131, 0xb8d2, v94
	v_add_f16_e32 v15, v16, v15
	v_fma_f16 v16, v81, s28, v115
	v_add_f16_e32 v195, v197, v195
	v_mul_f16_e32 v197, 0xbbf7, v90
	v_fma_f16 v132, v77, s35, v131
	v_add_f16_e32 v15, v16, v15
	v_fma_f16 v16, v83, s29, v116
	v_fma_f16 v198, v75, s4, -v197
	v_add_f16_e32 v129, v132, v129
	v_mul_f16_e32 v132, 0xbbdd, v97
	v_add_f16_e32 v15, v16, v15
	v_fma_f16 v16, v85, s15, v117
	v_add_f16_e32 v195, v198, v195
	v_mul_f16_e32 v198, 0x3a62, v93
	v_fma_f16 v133, v78, s36, v132
	v_add_f16_e32 v15, v16, v15
	v_fma_f16 v16, v86, s26, v118
	v_fma_f16 v199, v76, s27, -v198
	v_add_f16_e32 v129, v133, v129
	v_mul_f16_e32 v133, 0xbacd, v99
	v_add_f16_e32 v15, v16, v15
	v_fma_f16 v16, v71, s21, -v119
	v_add_f16_e32 v195, v199, v195
	v_mul_f16_e32 v199, 0xb5c8, v95
	v_fma_f16 v134, v81, s26, v133
	v_add_f16_e32 v16, v53, v16
	v_fma_f16 v17, v73, s27, -v121
	v_fma_f16 v200, v79, s20, -v199
	v_add_f16_e32 v129, v134, v129
	v_mul_f16_e32 v134, 0xb461, v102
	v_add_f16_e32 v16, v17, v16
	v_fma_f16 v17, v75, s14, -v122
	v_add_f16_e32 v195, v200, v195
	v_mul_f16_e32 v200, 0xb1e1, v98
	v_fma_f16 v135, v83, s17, v134
	v_add_f16_e32 v16, v17, v16
	v_fma_f16 v17, v76, s5, -v123
	;; [unrolled: 10-line block ×4, first 2 shown]
	v_fma_f16 v203, v84, s5, -v202
	v_add_f16_e32 v129, v137, v129
	v_mul_f16_e32 v137, 0xb964, v87
	v_add_f16_e32 v16, v17, v16
	v_fma_f16 v17, v72, s31, v128
	v_add_f16_e32 v195, v203, v195
	v_mul_f16_e32 v203, 0xb1e1, v72
	v_fma_f16 v138, v71, s19, v137
	v_mul_f16_e32 v139, 0xbbf7, v88
	v_add_f16_e32 v17, v54, v17
	v_fma_f16 v18, v74, s15, v130
	v_fma_f16 v204, v89, s14, v203
	v_mul_f16_e32 v205, 0x35c8, v74
	v_add_f16_e32 v138, v53, v138
	v_fma_f16 v140, v73, s4, v139
	v_add_f16_e32 v17, v18, v17
	v_fma_f16 v18, v77, s30, v131
	;; [unrolled: 2-line block ×3, first 2 shown]
	v_add_f16_e32 v138, v140, v138
	v_mul_f16_e32 v140, 0xba62, v90
	v_add_f16_e32 v17, v18, v17
	v_fma_f16 v18, v78, s18, v132
	v_add_f16_e32 v204, v206, v204
	v_mul_f16_e32 v206, 0xb836, v77
	v_fma_f16 v141, v75, s27, v140
	v_add_f16_e32 v17, v18, v17
	v_fma_f16 v18, v81, s22, v133
	v_fma_f16 v207, v94, s16, v206
	v_add_f16_e32 v138, v141, v138
	v_mul_f16_e32 v141, 0xb1e1, v93
	v_add_f16_e32 v17, v18, v17
	v_fma_f16 v18, v83, s23, v134
	v_add_f16_e32 v204, v207, v204
	v_mul_f16_e32 v207, 0x3964, v78
	v_fma_f16 v142, v76, s14, v141
	v_add_f16_e32 v17, v18, v17
	v_fma_f16 v18, v85, s33, v135
	v_fma_f16 v208, v97, s19, v207
	v_add_f16_e32 v138, v142, v138
	v_mul_f16_e32 v142, 0x3836, v95
	v_add_f16_e32 v17, v18, v17
	v_fma_f16 v18, v86, s25, v136
	v_add_f16_e32 v204, v208, v204
	v_mul_f16_e32 v208, 0xba62, v81
	v_fma_f16 v143, v79, s16, v142
	v_add_f16_e32 v17, v18, v17
	v_fma_f16 v18, v71, s19, -v137
	v_fma_f16 v209, v99, s27, v208
	v_add_f16_e32 v138, v143, v138
	v_mul_f16_e32 v143, 0x3bb2, v98
	v_add_f16_e32 v18, v53, v18
	v_fma_f16 v19, v73, s4, -v139
	v_add_f16_e32 v204, v209, v204
	v_mul_f16_e32 v209, 0x3b29, v83
	v_fma_f16 v144, v80, s5, v143
	v_add_f16_e32 v18, v19, v18
	v_fma_f16 v19, v75, s27, -v140
	v_fma_f16 v210, v102, s21, v209
	v_add_f16_e32 v138, v144, v138
	v_mul_f16_e32 v144, 0x3b29, v101
	v_add_f16_e32 v18, v19, v18
	v_fma_f16 v19, v76, s14, -v141
	;; [unrolled: 10-line block ×3, first 2 shown]
	v_add_f16_e32 v204, v211, v204
	v_mul_f16_e32 v211, 0x3bf7, v86
	v_fma_f16 v203, v89, s14, -v203
	v_fma_f16 v186, v89, s16, -v186
	;; [unrolled: 1-line block ×3, first 2 shown]
	v_fma_f16 v146, v84, s20, v145
	v_mul_f16_e32 v89, 0x3b76, v89
	v_add_f16_e32 v18, v19, v18
	v_fma_f16 v19, v82, s21, -v144
	v_fma_f16 v212, v105, s4, v211
	v_add_f16_e32 v203, v54, v203
	v_fma_f16 v205, v91, s20, -v205
	v_add_f16_e32 v186, v54, v186
	v_fma_f16 v187, v91, s21, -v187
	;; [unrolled: 2-line block ×3, first 2 shown]
	v_add_f16_e32 v138, v146, v138
	v_fma_f16 v146, v72, s25, v89
	v_mul_f16_e32 v91, 0x39e9, v91
	v_add_f16_e32 v18, v19, v18
	v_fma_f16 v19, v84, s20, -v145
	v_add_f16_e32 v204, v212, v204
	v_mul_f16_e32 v212, 0xb1e1, v87
	v_add_f16_e32 v203, v205, v203
	v_fma_f16 v205, v94, s16, -v206
	v_add_f16_e32 v186, v187, v186
	v_fma_f16 v187, v94, s4, -v188
	;; [unrolled: 2-line block ×3, first 2 shown]
	v_add_f16_e32 v146, v54, v146
	v_fma_f16 v147, v74, s28, v91
	v_mul_f16_e32 v94, 0x3722, v94
	v_add_f16_e32 v13, v14, v13
	v_add_f16_e32 v14, v55, v54
	v_add_f16_e32 v18, v19, v18
	v_fma_f16 v19, v72, s29, v89
	v_fma_f16 v213, v71, s14, -v212
	v_mul_f16_e32 v214, 0x35c8, v88
	v_add_f16_e32 v203, v205, v203
	v_fma_f16 v205, v97, s19, -v207
	v_add_f16_e32 v186, v187, v186
	v_fma_f16 v187, v97, s27, -v189
	;; [unrolled: 2-line block ×3, first 2 shown]
	v_add_f16_e32 v146, v147, v146
	v_fma_f16 v147, v77, s33, v94
	v_mul_f16_e32 v97, 0x2de8, v97
	v_add_f16_e32 v14, v56, v14
	v_add_f16_e32 v19, v54, v19
	v_fma_f16 v20, v74, s31, v91
	v_add_f16_e32 v213, v53, v213
	v_fma_f16 v215, v73, s20, -v214
	v_add_f16_e32 v203, v205, v203
	v_fma_f16 v205, v99, s27, -v208
	;; [unrolled: 2-line block ×4, first 2 shown]
	v_add_f16_e32 v146, v147, v146
	v_fma_f16 v147, v78, s34, v97
	v_mul_f16_e32 v99, 0xb461, v99
	v_add_f16_e32 v14, v57, v14
	v_add_f16_e32 v19, v20, v19
	v_fma_f16 v20, v77, s24, v94
	v_add_f16_e32 v213, v215, v213
	v_mul_f16_e32 v215, 0xb836, v90
	v_add_f16_e32 v203, v205, v203
	v_fma_f16 v205, v102, s21, -v209
	v_add_f16_e32 v186, v187, v186
	v_fma_f16 v187, v102, s14, -v191
	;; [unrolled: 2-line block ×3, first 2 shown]
	v_add_f16_e32 v146, v147, v146
	v_fma_f16 v147, v81, s23, v99
	v_mul_f16_e32 v102, 0xb8d2, v102
	v_add_f16_e32 v14, v58, v14
	v_add_f16_e32 v19, v20, v19
	v_fma_f16 v20, v78, s15, v97
	v_fma_f16 v216, v75, s16, -v215
	v_add_f16_e32 v203, v205, v203
	v_fma_f16 v205, v104, s5, -v210
	v_add_f16_e32 v186, v187, v186
	;; [unrolled: 2-line block ×4, first 2 shown]
	v_fma_f16 v147, v83, s35, v102
	v_mul_f16_e32 v104, 0xbacd, v104
	v_add_f16_e32 v14, v60, v14
	v_add_f16_e32 v19, v20, v19
	v_fma_f16 v20, v81, s17, v99
	v_add_f16_e32 v213, v216, v213
	v_mul_f16_e32 v216, 0x3964, v93
	v_add_f16_e32 v203, v205, v203
	v_fma_f16 v205, v105, s4, -v211
	v_add_f16_e32 v186, v187, v186
	v_fma_f16 v187, v105, s5, -v193
	;; [unrolled: 2-line block ×3, first 2 shown]
	v_add_f16_e32 v146, v147, v146
	v_fma_f16 v147, v85, s22, v104
	v_mul_f16_e32 v105, 0xbbdd, v105
	v_add_f16_e32 v14, v64, v14
	v_add_f16_e32 v19, v20, v19
	v_fma_f16 v20, v83, s30, v102
	v_fma_f16 v217, v76, s19, -v216
	v_add_f16_e32 v146, v147, v146
	v_fma_f16 v147, v86, s36, v105
	v_mul_f16_e32 v87, 0xb5c8, v87
	v_add_f16_e32 v14, v66, v14
	v_add_f16_e32 v19, v20, v19
	v_fma_f16 v20, v85, s26, v104
	v_add_f16_e32 v213, v217, v213
	v_mul_f16_e32 v217, 0xba62, v95
	v_add_f16_e32 v146, v147, v146
	v_fma_f16 v147, v71, s20, v87
	v_mul_f16_e32 v88, 0xb964, v88
	v_add_f16_e32 v14, v65, v14
	v_add_f16_e32 v19, v20, v19
	v_fma_f16 v20, v86, s18, v105
	v_fma_f16 v218, v79, s27, -v217
	v_add_f16_e32 v147, v53, v147
	v_fma_f16 v148, v73, s19, v88
	v_mul_f16_e32 v90, 0xbb29, v90
	v_add_f16_e32 v14, v63, v14
	v_add_f16_e32 v19, v20, v19
	v_fma_f16 v20, v71, s20, -v87
	v_add_f16_e32 v213, v218, v213
	v_mul_f16_e32 v218, 0x3b29, v98
	v_add_f16_e32 v147, v148, v147
	v_fma_f16 v148, v75, s21, v90
	v_mul_f16_e32 v93, 0xbbf7, v93
	v_add_f16_e32 v14, v62, v14
	v_add_f16_e32 v20, v53, v20
	v_fma_f16 v21, v73, s19, -v88
	v_fma_f16 v219, v80, s21, -v218
	v_add_f16_e32 v186, v187, v186
	v_fma_f16 v187, v71, s16, v194
	v_add_f16_e32 v170, v171, v170
	v_fma_f16 v171, v71, s27, v178
	;; [unrolled: 2-line block ×3, first 2 shown]
	v_mul_f16_e32 v95, 0xbbb2, v95
	v_add_f16_e32 v14, v61, v14
	v_add_f16_e32 v20, v21, v20
	v_fma_f16 v21, v75, s21, -v90
	v_add_f16_e32 v213, v219, v213
	v_mul_f16_e32 v219, 0xbbb2, v101
	v_add_f16_e32 v203, v205, v203
	v_fma_f16 v205, v71, s14, v212
	v_add_f16_e32 v187, v53, v187
	v_fma_f16 v188, v73, s21, v196
	;; [unrolled: 2-line block ×4, first 2 shown]
	v_mul_f16_e32 v98, 0xba62, v98
	v_add_f16_e32 v14, v59, v14
	v_add_f16_e32 v20, v21, v20
	v_fma_f16 v21, v76, s4, -v93
	v_fma_f16 v220, v82, s5, -v219
	v_add_f16_e32 v205, v53, v205
	v_fma_f16 v206, v73, s20, v214
	v_add_f16_e32 v187, v188, v187
	v_fma_f16 v188, v75, s4, v197
	;; [unrolled: 2-line block ×4, first 2 shown]
	v_mul_f16_e32 v101, 0xb836, v101
	v_add_f16_e32 v14, v52, v14
	v_add_f16_e32 v20, v21, v20
	v_fma_f16 v21, v79, s5, -v95
	v_add_f16_e32 v213, v220, v213
	v_mul_f16_e32 v220, 0x3bf7, v103
	v_add_f16_e32 v205, v206, v205
	v_fma_f16 v206, v75, s16, v215
	v_add_f16_e32 v187, v188, v187
	v_fma_f16 v188, v76, s27, v198
	;; [unrolled: 2-line block ×4, first 2 shown]
	v_mul_f16_e32 v103, 0xb1e1, v103
	v_add_f16_e32 v14, v35, v14
	v_add_f16_e32 v20, v21, v20
	v_fma_f16 v21, v80, s27, -v98
	v_add_f16_e32 v205, v206, v205
	v_fma_f16 v206, v76, s19, v216
	v_add_f16_e32 v187, v188, v187
	v_fma_f16 v188, v79, s20, v199
	;; [unrolled: 2-line block ×4, first 2 shown]
	v_add_f16_e32 v14, v34, v14
	v_add_f16_e32 v20, v21, v20
	v_fma_f16 v21, v82, s16, -v101
	v_add_f16_e32 v205, v206, v205
	v_fma_f16 v206, v79, s27, v217
	v_add_f16_e32 v187, v188, v187
	v_fma_f16 v188, v80, s14, v200
	;; [unrolled: 2-line block ×3, first 2 shown]
	v_add_f16_e32 v147, v148, v147
	v_add_f16_e32 v14, v36, v14
	;; [unrolled: 1-line block ×3, first 2 shown]
	v_fma_f16 v21, v84, s14, -v103
	v_add_f16_e32 v205, v206, v205
	v_fma_f16 v206, v80, s21, v218
	v_add_f16_e32 v187, v188, v187
	v_fma_f16 v188, v82, s19, v201
	;; [unrolled: 2-line block ×3, first 2 shown]
	v_add_f16_e32 v20, v21, v20
	v_lshl_add_u32 v21, v33, 2, v31
	v_pack_b32_f16 v22, v147, v146
	v_pack_b32_f16 v13, v13, v14
	v_add_f16_e32 v205, v206, v205
	v_fma_f16 v206, v82, s5, v219
	v_add_f16_e32 v187, v188, v187
	v_fma_f16 v188, v84, s5, v202
	;; [unrolled: 2-line block ×3, first 2 shown]
	ds_write2_b32 v21, v13, v22 offset1:1
	v_pack_b32_f16 v13, v120, v109
	v_pack_b32_f16 v14, v138, v129
	v_fma_f16 v221, v84, s4, -v220
	v_add_f16_e32 v205, v206, v205
	v_fma_f16 v206, v84, s4, v220
	v_add_f16_e32 v187, v188, v187
	v_add_f16_e32 v171, v172, v171
	ds_write2_b32 v21, v14, v13 offset0:2 offset1:3
	v_pack_b32_f16 v13, v111, v114
	v_pack_b32_f16 v14, v106, v107
	v_add_f16_e32 v213, v221, v213
	v_add_f16_e32 v205, v206, v205
	ds_write2_b32 v21, v14, v13 offset0:4 offset1:5
	v_pack_b32_f16 v13, v187, v186
	v_pack_b32_f16 v14, v171, v170
	ds_write2_b32 v21, v14, v13 offset0:6 offset1:7
	v_pack_b32_f16 v13, v213, v204
	v_pack_b32_f16 v14, v205, v203
	;; [unrolled: 3-line block ×3, first 2 shown]
	s_mov_b32 s4, 0x5040100
	ds_write2_b32 v21, v14, v13 offset0:10 offset1:11
	v_perm_b32 v13, v68, v67, s4
	v_perm_b32 v14, v70, v69, s4
	ds_write2_b32 v21, v14, v13 offset0:12 offset1:13
	v_pack_b32_f16 v13, v18, v17
	v_pack_b32_f16 v14, v16, v15
	ds_write2_b32 v21, v14, v13 offset0:14 offset1:15
	v_pack_b32_f16 v13, v20, v19
	ds_write_b32 v21, v13 offset:64
.LBB0_17:
	s_or_b64 exec, exec, s[2:3]
	v_add_u32_e32 v19, 0x400, v37
	s_waitcnt lgkmcnt(0)
	s_barrier
	ds_read2_b32 v[17:18], v37 offset1:34
	ds_read2_b32 v[23:24], v37 offset0:221 offset1:255
	ds_read2_b32 v[15:16], v37 offset0:68 offset1:102
	;; [unrolled: 1-line block ×5, first 2 shown]
	s_and_saveexec_b64 s[2:3], s[0:1]
	s_cbranch_execz .LBB0_19
; %bb.18:
	ds_read_b32 v69, v37 offset:816
	ds_read_b32 v67, v37 offset:1700
	s_waitcnt lgkmcnt(1)
	v_lshrrev_b32_e32 v70, 16, v69
	s_waitcnt lgkmcnt(0)
	v_lshrrev_b32_e32 v68, 16, v67
.LBB0_19:
	s_or_b64 exec, exec, s[2:3]
	s_waitcnt lgkmcnt(4)
	v_lshrrev_b32_e32 v26, 16, v23
	v_mul_f16_sdwa v56, v43, v26 dst_sel:DWORD dst_unused:UNUSED_PAD src0_sel:WORD_1 src1_sel:DWORD
	v_lshrrev_b32_e32 v28, 16, v24
	v_fma_f16 v56, v43, v23, v56
	v_mul_f16_sdwa v23, v43, v23 dst_sel:DWORD dst_unused:UNUSED_PAD src0_sel:WORD_1 src1_sel:DWORD
	v_fma_f16 v23, v43, v26, -v23
	v_mul_f16_sdwa v26, v42, v28 dst_sel:DWORD dst_unused:UNUSED_PAD src0_sel:WORD_1 src1_sel:DWORD
	s_waitcnt lgkmcnt(2)
	v_lshrrev_b32_e32 v34, 16, v21
	v_fma_f16 v26, v42, v24, v26
	v_mul_f16_sdwa v24, v42, v24 dst_sel:DWORD dst_unused:UNUSED_PAD src0_sel:WORD_1 src1_sel:DWORD
	v_fma_f16 v24, v42, v28, -v24
	v_mul_f16_sdwa v28, v41, v34 dst_sel:DWORD dst_unused:UNUSED_PAD src0_sel:WORD_1 src1_sel:DWORD
	v_lshrrev_b32_e32 v36, 16, v22
	v_fma_f16 v28, v41, v21, v28
	v_mul_f16_sdwa v21, v41, v21 dst_sel:DWORD dst_unused:UNUSED_PAD src0_sel:WORD_1 src1_sel:DWORD
	v_lshrrev_b32_e32 v25, 16, v17
	v_fma_f16 v21, v41, v34, -v21
	v_mul_f16_sdwa v34, v40, v36 dst_sel:DWORD dst_unused:UNUSED_PAD src0_sel:WORD_1 src1_sel:DWORD
	v_lshrrev_b32_e32 v27, 16, v18
	s_waitcnt lgkmcnt(0)
	v_lshrrev_b32_e32 v53, 16, v19
	v_fma_f16 v34, v40, v22, v34
	v_mul_f16_sdwa v22, v40, v22 dst_sel:DWORD dst_unused:UNUSED_PAD src0_sel:WORD_1 src1_sel:DWORD
	v_sub_f16_e32 v41, v17, v56
	v_sub_f16_e32 v23, v25, v23
	v_lshrrev_b32_e32 v33, 16, v15
	v_lshrrev_b32_e32 v55, 16, v20
	v_fma_f16 v22, v40, v36, -v22
	v_mul_f16_sdwa v36, v44, v53 dst_sel:DWORD dst_unused:UNUSED_PAD src0_sel:WORD_1 src1_sel:DWORD
	v_fma_f16 v17, v17, 2.0, -v41
	v_fma_f16 v25, v25, 2.0, -v23
	v_sub_f16_e32 v26, v18, v26
	v_sub_f16_e32 v24, v27, v24
	v_lshrrev_b32_e32 v35, 16, v16
	v_fma_f16 v36, v44, v19, v36
	v_mul_f16_sdwa v19, v44, v19 dst_sel:DWORD dst_unused:UNUSED_PAD src0_sel:WORD_1 src1_sel:DWORD
	v_mul_f16_sdwa v40, v45, v55 dst_sel:DWORD dst_unused:UNUSED_PAD src0_sel:WORD_1 src1_sel:DWORD
	v_fma_f16 v18, v18, 2.0, -v26
	v_fma_f16 v27, v27, 2.0, -v24
	v_sub_f16_e32 v28, v15, v28
	v_sub_f16_e32 v21, v33, v21
	v_pack_b32_f16 v17, v17, v25
	v_pack_b32_f16 v23, v41, v23
	v_lshrrev_b32_e32 v52, 16, v13
	v_fma_f16 v19, v44, v53, -v19
	v_fma_f16 v40, v45, v20, v40
	v_mul_f16_sdwa v20, v45, v20 dst_sel:DWORD dst_unused:UNUSED_PAD src0_sel:WORD_1 src1_sel:DWORD
	v_fma_f16 v15, v15, 2.0, -v28
	v_fma_f16 v33, v33, 2.0, -v21
	v_sub_f16_e32 v34, v16, v34
	v_sub_f16_e32 v22, v35, v22
	s_barrier
	ds_write2_b32 v46, v17, v23 offset1:17
	v_pack_b32_f16 v17, v18, v27
	v_pack_b32_f16 v18, v26, v24
	v_lshrrev_b32_e32 v54, 16, v14
	v_fma_f16 v20, v45, v55, -v20
	v_fma_f16 v16, v16, 2.0, -v34
	v_fma_f16 v35, v35, 2.0, -v22
	v_sub_f16_e32 v36, v13, v36
	v_sub_f16_e32 v19, v52, v19
	ds_write2_b32 v47, v17, v18 offset1:17
	v_pack_b32_f16 v15, v15, v33
	v_pack_b32_f16 v17, v28, v21
	v_fma_f16 v13, v13, 2.0, -v36
	v_fma_f16 v42, v52, 2.0, -v19
	v_sub_f16_e32 v40, v14, v40
	v_sub_f16_e32 v20, v54, v20
	ds_write2_b32 v48, v15, v17 offset1:17
	v_pack_b32_f16 v15, v16, v35
	v_pack_b32_f16 v16, v34, v22
	v_fma_f16 v14, v14, 2.0, -v40
	v_fma_f16 v43, v54, 2.0, -v20
	ds_write2_b32 v49, v15, v16 offset1:17
	v_pack_b32_f16 v13, v13, v42
	v_pack_b32_f16 v15, v36, v19
	ds_write2_b32 v50, v13, v15 offset1:17
	v_pack_b32_f16 v13, v14, v43
	v_pack_b32_f16 v14, v40, v20
	ds_write2_b32 v51, v13, v14 offset1:17
	s_and_saveexec_b64 s[2:3], s[0:1]
	s_cbranch_execz .LBB0_21
; %bb.20:
	v_mul_f16_sdwa v13, v39, v68 dst_sel:DWORD dst_unused:UNUSED_PAD src0_sel:WORD_1 src1_sel:DWORD
	v_mul_f16_sdwa v15, v39, v67 dst_sel:DWORD dst_unused:UNUSED_PAD src0_sel:WORD_1 src1_sel:DWORD
	v_fma_f16 v13, v39, v67, v13
	v_fma_f16 v15, v39, v68, -v15
	v_sub_f16_e32 v13, v69, v13
	v_sub_f16_e32 v15, v70, v15
	v_and_b32_e32 v17, 0xff, v38
	v_fma_f16 v14, v69, 2.0, -v13
	v_fma_f16 v16, v70, 2.0, -v15
	v_lshl_add_u32 v17, v17, 2, v31
	v_pack_b32_f16 v14, v14, v16
	v_pack_b32_f16 v13, v13, v15
	v_add_u32_e32 v15, 0x400, v17
	ds_write2_b32 v15, v14, v13 offset0:152 offset1:169
.LBB0_21:
	s_or_b64 exec, exec, s[2:3]
	s_waitcnt lgkmcnt(0)
	s_barrier
	ds_read2_b32 v[13:14], v37 offset1:34
	ds_read2_b32 v[15:16], v37 offset0:68 offset1:102
	ds_read2_b32 v[17:18], v37 offset0:136 offset1:170
	;; [unrolled: 1-line block ×3, first 2 shown]
	v_add_u32_e32 v23, 0x400, v37
	s_waitcnt lgkmcnt(3)
	v_lshrrev_b32_e32 v25, 16, v14
	v_mul_f16_sdwa v41, v0, v25 dst_sel:DWORD dst_unused:UNUSED_PAD src0_sel:WORD_1 src1_sel:DWORD
	s_waitcnt lgkmcnt(2)
	v_lshrrev_b32_e32 v26, 16, v15
	v_fma_f16 v41, v0, v14, v41
	v_mul_f16_sdwa v14, v0, v14 dst_sel:DWORD dst_unused:UNUSED_PAD src0_sel:WORD_1 src1_sel:DWORD
	v_fma_f16 v0, v0, v25, -v14
	v_mul_f16_sdwa v14, v1, v26 dst_sel:DWORD dst_unused:UNUSED_PAD src0_sel:WORD_1 src1_sel:DWORD
	v_lshrrev_b32_e32 v27, 16, v16
	v_fma_f16 v14, v1, v15, v14
	v_mul_f16_sdwa v15, v1, v15 dst_sel:DWORD dst_unused:UNUSED_PAD src0_sel:WORD_1 src1_sel:DWORD
	v_fma_f16 v1, v1, v26, -v15
	v_mul_f16_sdwa v15, v2, v27 dst_sel:DWORD dst_unused:UNUSED_PAD src0_sel:WORD_1 src1_sel:DWORD
	s_waitcnt lgkmcnt(1)
	v_lshrrev_b32_e32 v28, 16, v17
	v_fma_f16 v15, v2, v16, v15
	v_mul_f16_sdwa v16, v2, v16 dst_sel:DWORD dst_unused:UNUSED_PAD src0_sel:WORD_1 src1_sel:DWORD
	v_fma_f16 v2, v2, v27, -v16
	v_mul_f16_sdwa v16, v3, v28 dst_sel:DWORD dst_unused:UNUSED_PAD src0_sel:WORD_1 src1_sel:DWORD
	v_lshrrev_b32_e32 v31, 16, v18
	v_fma_f16 v16, v3, v17, v16
	v_mul_f16_sdwa v17, v3, v17 dst_sel:DWORD dst_unused:UNUSED_PAD src0_sel:WORD_1 src1_sel:DWORD
	ds_read2_b32 v[21:22], v23 offset0:16 offset1:50
	v_fma_f16 v3, v3, v28, -v17
	v_mul_f16_sdwa v17, v4, v31 dst_sel:DWORD dst_unused:UNUSED_PAD src0_sel:WORD_1 src1_sel:DWORD
	s_waitcnt lgkmcnt(1)
	v_lshrrev_b32_e32 v33, 16, v19
	v_fma_f16 v17, v4, v18, v17
	v_mul_f16_sdwa v18, v4, v18 dst_sel:DWORD dst_unused:UNUSED_PAD src0_sel:WORD_1 src1_sel:DWORD
	v_fma_f16 v4, v4, v31, -v18
	v_mul_f16_sdwa v18, v5, v33 dst_sel:DWORD dst_unused:UNUSED_PAD src0_sel:WORD_1 src1_sel:DWORD
	v_lshrrev_b32_e32 v34, 16, v20
	v_fma_f16 v18, v5, v19, v18
	v_mul_f16_sdwa v19, v5, v19 dst_sel:DWORD dst_unused:UNUSED_PAD src0_sel:WORD_1 src1_sel:DWORD
	ds_read2_b32 v[23:24], v23 offset0:84 offset1:118
	v_fma_f16 v5, v5, v33, -v19
	v_mul_f16_sdwa v19, v6, v34 dst_sel:DWORD dst_unused:UNUSED_PAD src0_sel:WORD_1 src1_sel:DWORD
	s_waitcnt lgkmcnt(1)
	v_lshrrev_b32_e32 v36, 16, v21
	v_fma_f16 v19, v6, v20, v19
	v_mul_f16_sdwa v20, v6, v20 dst_sel:DWORD dst_unused:UNUSED_PAD src0_sel:WORD_1 src1_sel:DWORD
	v_fma_f16 v6, v6, v34, -v20
	v_mul_f16_sdwa v20, v7, v36 dst_sel:DWORD dst_unused:UNUSED_PAD src0_sel:WORD_1 src1_sel:DWORD
	ds_read_b32 v35, v37 offset:1632
	v_lshrrev_b32_e32 v37, 16, v22
	v_fma_f16 v20, v7, v21, v20
	v_mul_f16_sdwa v21, v7, v21 dst_sel:DWORD dst_unused:UNUSED_PAD src0_sel:WORD_1 src1_sel:DWORD
	v_fma_f16 v7, v7, v36, -v21
	v_mul_f16_sdwa v21, v8, v37 dst_sel:DWORD dst_unused:UNUSED_PAD src0_sel:WORD_1 src1_sel:DWORD
	s_waitcnt lgkmcnt(1)
	v_lshrrev_b32_e32 v38, 16, v23
	v_fma_f16 v21, v8, v22, v21
	v_mul_f16_sdwa v22, v8, v22 dst_sel:DWORD dst_unused:UNUSED_PAD src0_sel:WORD_1 src1_sel:DWORD
	v_fma_f16 v8, v8, v37, -v22
	v_mul_f16_sdwa v22, v9, v38 dst_sel:DWORD dst_unused:UNUSED_PAD src0_sel:WORD_1 src1_sel:DWORD
	v_lshrrev_b32_e32 v39, 16, v24
	v_fma_f16 v22, v9, v23, v22
	v_mul_f16_sdwa v23, v9, v23 dst_sel:DWORD dst_unused:UNUSED_PAD src0_sel:WORD_1 src1_sel:DWORD
	v_fma_f16 v9, v9, v38, -v23
	v_mul_f16_sdwa v23, v10, v39 dst_sel:DWORD dst_unused:UNUSED_PAD src0_sel:WORD_1 src1_sel:DWORD
	s_waitcnt lgkmcnt(0)
	v_lshrrev_b32_e32 v40, 16, v35
	v_fma_f16 v23, v10, v24, v23
	v_mul_f16_sdwa v24, v10, v24 dst_sel:DWORD dst_unused:UNUSED_PAD src0_sel:WORD_1 src1_sel:DWORD
	v_fma_f16 v10, v10, v39, -v24
	v_mul_f16_sdwa v24, v11, v40 dst_sel:DWORD dst_unused:UNUSED_PAD src0_sel:WORD_1 src1_sel:DWORD
	v_mul_f16_sdwa v25, v11, v35 dst_sel:DWORD dst_unused:UNUSED_PAD src0_sel:WORD_1 src1_sel:DWORD
	v_fma_f16 v24, v11, v35, v24
	v_fma_f16 v11, v11, v40, -v25
	v_add_f16_e32 v25, v13, v41
	v_add_f16_sdwa v26, v13, v0 dst_sel:DWORD dst_unused:UNUSED_PAD src0_sel:WORD_1 src1_sel:DWORD
	v_add_f16_e32 v25, v25, v14
	v_add_f16_e32 v26, v26, v1
	;; [unrolled: 1-line block ×21, first 2 shown]
	v_sub_f16_e32 v0, v0, v11
	v_add_f16_e32 v25, v25, v24
	v_add_f16_e32 v26, v26, v11
	;; [unrolled: 1-line block ×3, first 2 shown]
	v_sub_f16_e32 v24, v41, v24
	s_mov_b32 s14, 0xb770
	v_mul_f16_e32 v11, 0xb770, v0
	s_movk_i32 s15, 0x3b15
	v_mul_f16_e32 v33, 0x3b15, v28
	s_movk_i32 s16, 0x3770
	s_mov_b32 s3, 0xba95
	v_mul_f16_e32 v35, 0xba95, v0
	s_movk_i32 s4, 0x388b
	v_mul_f16_e32 v37, 0x388b, v28
	s_movk_i32 s5, 0x3a95
	;; [unrolled: 5-line block ×3, first 2 shown]
	s_mov_b32 s17, 0xbb7b
	v_mul_f16_e32 v43, 0xbb7b, v0
	s_mov_b32 s18, 0xb5ac
	v_mul_f16_e32 v45, 0xb5ac, v28
	s_movk_i32 s19, 0x3b7b
	s_mov_b32 s20, 0xb94e
	v_mul_f16_e32 v47, 0xb94e, v0
	s_mov_b32 s21, 0xb9fd
	v_mul_f16_e32 v49, 0xb9fd, v28
	s_movk_i32 s22, 0x394e
	;; [unrolled: 5-line block ×3, first 2 shown]
	v_fma_f16 v31, v27, s15, v11
	v_fma_f16 v34, v24, s16, v33
	v_fma_f16 v11, v27, s15, -v11
	v_fma_f16 v33, v24, s14, v33
	v_fma_f16 v36, v27, s4, v35
	v_fma_f16 v38, v24, s5, v37
	v_fma_f16 v35, v27, s4, -v35
	v_fma_f16 v37, v24, s3, v37
	;; [unrolled: 4-line block ×6, first 2 shown]
	v_add_f16_e32 v27, v1, v10
	v_sub_f16_e32 v1, v1, v10
	v_add_f16_e32 v31, v13, v31
	v_add_f16_sdwa v34, v13, v34 dst_sel:DWORD dst_unused:UNUSED_PAD src0_sel:WORD_1 src1_sel:DWORD
	v_add_f16_e32 v11, v13, v11
	v_add_f16_sdwa v33, v13, v33 dst_sel:DWORD dst_unused:UNUSED_PAD src0_sel:WORD_1 src1_sel:DWORD
	;; [unrolled: 2-line block ×12, first 2 shown]
	v_add_f16_e32 v24, v14, v23
	v_mul_f16_e32 v10, 0xba95, v1
	v_sub_f16_e32 v14, v14, v23
	v_fma_f16 v23, v24, s4, v10
	v_mul_f16_e32 v28, 0x388b, v27
	v_fma_f16 v10, v24, s4, -v10
	v_add_f16_e32 v23, v23, v31
	v_fma_f16 v31, v14, s5, v28
	v_add_f16_e32 v10, v10, v11
	v_fma_f16 v11, v14, s3, v28
	v_mul_f16_e32 v28, 0xbb7b, v1
	v_add_f16_e32 v31, v31, v34
	v_add_f16_e32 v11, v11, v33
	v_fma_f16 v33, v24, s18, v28
	v_mul_f16_e32 v34, 0xb5ac, v27
	v_fma_f16 v28, v24, s18, -v28
	v_add_f16_e32 v33, v33, v36
	v_fma_f16 v36, v14, s19, v34
	v_add_f16_e32 v28, v28, v35
	v_fma_f16 v34, v14, s17, v34
	v_mul_f16_e32 v35, 0xb3a8, v1
	v_add_f16_e32 v36, v36, v38
	v_add_f16_e32 v34, v34, v37
	;; [unrolled: 10-line block ×4, first 2 shown]
	v_fma_f16 v45, v24, s1, v43
	v_mul_f16_e32 v46, 0x2fb7, v27
	v_fma_f16 v43, v24, s1, -v43
	v_mul_f16_e32 v1, 0x3770, v1
	v_add_f16_e32 v45, v45, v48
	v_fma_f16 v48, v14, s0, v46
	v_add_f16_e32 v43, v43, v47
	v_fma_f16 v46, v14, s2, v46
	v_fma_f16 v47, v24, s15, v1
	v_mul_f16_e32 v27, 0x3b15, v27
	v_fma_f16 v1, v24, s15, -v1
	v_add_f16_e32 v46, v46, v49
	v_fma_f16 v49, v14, s14, v27
	v_add_f16_e32 v0, v1, v0
	v_fma_f16 v1, v14, s16, v27
	v_add_f16_e32 v14, v2, v9
	v_sub_f16_e32 v2, v2, v9
	v_add_f16_e32 v1, v1, v13
	v_add_f16_e32 v13, v15, v22
	v_mul_f16_e32 v9, 0xbbf1, v2
	v_sub_f16_e32 v15, v15, v22
	v_fma_f16 v22, v13, s1, v9
	v_add_f16_e32 v22, v22, v23
	v_mul_f16_e32 v23, 0x2fb7, v14
	v_fma_f16 v9, v13, s1, -v9
	v_add_f16_e32 v9, v9, v10
	v_fma_f16 v10, v15, s0, v23
	v_add_f16_e32 v10, v10, v11
	v_mul_f16_e32 v11, 0xb3a8, v2
	v_fma_f16 v24, v15, s2, v23
	v_fma_f16 v23, v13, s24, v11
	v_fma_f16 v11, v13, s24, -v11
	v_mul_f16_e32 v27, 0xbbc4, v14
	v_add_f16_e32 v11, v11, v28
	v_mul_f16_e32 v28, 0x3b7b, v2
	v_add_f16_e32 v24, v24, v31
	v_add_f16_e32 v23, v23, v33
	v_fma_f16 v31, v15, s25, v27
	v_fma_f16 v27, v15, s23, v27
	;; [unrolled: 1-line block ×3, first 2 shown]
	v_fma_f16 v28, v13, s18, -v28
	v_add_f16_e32 v27, v27, v34
	v_mul_f16_e32 v34, 0xb5ac, v14
	v_add_f16_e32 v28, v28, v35
	v_mul_f16_e32 v35, 0x3770, v2
	v_add_f16_e32 v31, v31, v36
	v_add_f16_e32 v33, v33, v37
	v_fma_f16 v36, v15, s17, v34
	v_fma_f16 v34, v15, s19, v34
	;; [unrolled: 1-line block ×3, first 2 shown]
	v_fma_f16 v35, v13, s15, -v35
	v_add_f16_e32 v34, v34, v38
	v_mul_f16_e32 v38, 0x3b15, v14
	v_add_f16_e32 v35, v35, v39
	v_mul_f16_e32 v39, 0xba95, v2
	v_add_f16_e32 v36, v36, v40
	v_add_f16_e32 v37, v37, v41
	v_fma_f16 v40, v15, s14, v38
	v_fma_f16 v38, v15, s16, v38
	;; [unrolled: 1-line block ×3, first 2 shown]
	v_fma_f16 v39, v13, s4, -v39
	v_mul_f16_e32 v2, 0xb94e, v2
	v_add_f16_e32 v38, v38, v42
	v_mul_f16_e32 v42, 0x388b, v14
	v_add_f16_e32 v39, v39, v43
	v_fma_f16 v43, v13, s21, v2
	v_mul_f16_e32 v14, 0xb9fd, v14
	v_fma_f16 v2, v13, s21, -v2
	v_add_f16_e32 v0, v2, v0
	v_fma_f16 v2, v15, s20, v14
	v_add_f16_e32 v13, v3, v8
	v_sub_f16_e32 v3, v3, v8
	v_add_f16_e32 v1, v2, v1
	v_add_f16_e32 v2, v16, v21
	v_mul_f16_e32 v8, 0xbb7b, v3
	v_add_f16_e32 v40, v40, v44
	v_add_f16_e32 v41, v41, v45
	v_fma_f16 v44, v15, s5, v42
	v_fma_f16 v42, v15, s3, v42
	;; [unrolled: 1-line block ×3, first 2 shown]
	v_sub_f16_e32 v14, v16, v21
	v_fma_f16 v15, v2, s18, v8
	v_mul_f16_e32 v16, 0xb5ac, v13
	v_fma_f16 v8, v2, s18, -v8
	v_add_f16_e32 v8, v8, v9
	v_fma_f16 v9, v14, s17, v16
	v_add_f16_e32 v9, v9, v10
	v_mul_f16_e32 v10, 0x394e, v3
	v_add_f16_e32 v15, v15, v22
	v_fma_f16 v21, v14, s19, v16
	v_fma_f16 v16, v2, s21, v10
	v_mul_f16_e32 v22, 0xb9fd, v13
	v_fma_f16 v10, v2, s21, -v10
	v_add_f16_e32 v16, v16, v23
	v_fma_f16 v23, v14, s20, v22
	v_add_f16_e32 v10, v10, v11
	v_fma_f16 v11, v14, s22, v22
	v_mul_f16_e32 v22, 0x3770, v3
	v_add_f16_e32 v21, v21, v24
	v_fma_f16 v24, v2, s15, v22
	v_fma_f16 v22, v2, s15, -v22
	v_add_f16_e32 v11, v11, v27
	v_mul_f16_e32 v27, 0x3b15, v13
	v_add_f16_e32 v22, v22, v28
	v_mul_f16_e32 v28, 0xbbf1, v3
	v_add_f16_e32 v23, v23, v31
	v_add_f16_e32 v24, v24, v33
	v_fma_f16 v31, v14, s14, v27
	v_fma_f16 v27, v14, s16, v27
	;; [unrolled: 1-line block ×3, first 2 shown]
	v_fma_f16 v28, v2, s1, -v28
	v_add_f16_e32 v27, v27, v34
	v_mul_f16_e32 v34, 0x2fb7, v13
	v_add_f16_e32 v28, v28, v35
	v_mul_f16_e32 v35, 0x33a8, v3
	v_add_f16_e32 v31, v31, v36
	v_add_f16_e32 v33, v33, v37
	v_fma_f16 v36, v14, s2, v34
	v_fma_f16 v34, v14, s0, v34
	;; [unrolled: 1-line block ×3, first 2 shown]
	v_fma_f16 v35, v2, s24, -v35
	v_mul_f16_e32 v3, 0x3a95, v3
	v_add_f16_e32 v34, v34, v38
	v_mul_f16_e32 v38, 0xbbc4, v13
	v_add_f16_e32 v35, v35, v39
	v_fma_f16 v39, v2, s4, v3
	v_mul_f16_e32 v13, 0x388b, v13
	v_fma_f16 v2, v2, s4, -v3
	v_add_f16_e32 v0, v2, v0
	v_fma_f16 v2, v14, s5, v13
	v_add_f16_e32 v3, v4, v7
	v_sub_f16_e32 v4, v4, v7
	v_add_f16_e32 v1, v2, v1
	v_add_f16_e32 v2, v17, v20
	v_mul_f16_e32 v7, 0xb94e, v4
	v_add_f16_e32 v36, v36, v40
	v_add_f16_e32 v37, v37, v41
	v_fma_f16 v40, v14, s23, v38
	v_fma_f16 v38, v14, s25, v38
	v_fma_f16 v41, v14, s3, v13
	v_fma_f16 v14, v2, s21, v7
	v_sub_f16_e32 v13, v17, v20
	v_add_f16_e32 v14, v14, v15
	v_mul_f16_e32 v15, 0xb9fd, v3
	v_fma_f16 v7, v2, s21, -v7
	v_add_f16_e32 v7, v7, v8
	v_fma_f16 v8, v13, s20, v15
	v_add_f16_e32 v8, v8, v9
	v_mul_f16_e32 v9, 0x3bf1, v4
	v_fma_f16 v17, v13, s22, v15
	v_fma_f16 v15, v2, s1, v9
	v_add_f16_e32 v15, v15, v16
	v_mul_f16_e32 v16, 0x2fb7, v3
	v_fma_f16 v9, v2, s1, -v9
	v_add_f16_e32 v9, v9, v10
	v_fma_f16 v10, v13, s2, v16
	v_add_f16_e32 v10, v10, v11
	v_mul_f16_e32 v11, 0xba95, v4
	v_fma_f16 v20, v13, s0, v16
	v_fma_f16 v16, v2, s4, v11
	v_fma_f16 v11, v2, s4, -v11
	v_add_f16_e32 v17, v17, v21
	v_mul_f16_e32 v21, 0x388b, v3
	v_add_f16_e32 v11, v11, v22
	v_mul_f16_e32 v22, 0x33a8, v4
	v_add_f16_e32 v20, v20, v23
	v_add_f16_e32 v16, v16, v24
	v_fma_f16 v23, v13, s5, v21
	v_fma_f16 v21, v13, s3, v21
	;; [unrolled: 1-line block ×3, first 2 shown]
	v_fma_f16 v22, v2, s24, -v22
	v_add_f16_e32 v21, v21, v27
	v_mul_f16_e32 v27, 0xbbc4, v3
	v_add_f16_e32 v22, v22, v28
	v_mul_f16_e32 v28, 0x3770, v4
	v_add_f16_e32 v23, v23, v31
	v_add_f16_e32 v24, v24, v33
	v_fma_f16 v31, v13, s23, v27
	v_fma_f16 v27, v13, s25, v27
	;; [unrolled: 1-line block ×3, first 2 shown]
	v_fma_f16 v28, v2, s15, -v28
	v_mul_f16_e32 v4, 0xbb7b, v4
	v_add_f16_e32 v27, v27, v34
	v_mul_f16_e32 v34, 0x3b15, v3
	v_add_f16_e32 v28, v28, v35
	v_fma_f16 v35, v2, s18, v4
	v_mul_f16_e32 v3, 0xb5ac, v3
	v_fma_f16 v2, v2, s18, -v4
	v_add_f16_e32 v33, v33, v37
	v_fma_f16 v37, v13, s19, v3
	v_add_f16_e32 v0, v2, v0
	v_fma_f16 v2, v13, s17, v3
	v_add_f16_e32 v3, v5, v6
	v_sub_f16_e32 v5, v5, v6
	v_add_f16_e32 v1, v2, v1
	v_add_f16_e32 v2, v18, v19
	v_mul_f16_e32 v6, 0xb3a8, v5
	v_add_f16_e32 v31, v31, v36
	v_fma_f16 v36, v13, s14, v34
	v_fma_f16 v34, v13, s16, v34
	;; [unrolled: 1-line block ×3, first 2 shown]
	v_sub_f16_e32 v4, v18, v19
	v_add_f16_e32 v13, v13, v14
	v_mul_f16_e32 v14, 0xbbc4, v3
	v_fma_f16 v6, v2, s24, -v6
	v_add_f16_e32 v6, v6, v7
	v_fma_f16 v7, v4, s23, v14
	v_add_f16_e32 v7, v7, v8
	v_mul_f16_e32 v8, 0x3770, v5
	v_fma_f16 v18, v4, s25, v14
	v_fma_f16 v14, v2, s15, v8
	v_add_f16_e32 v14, v14, v15
	v_mul_f16_e32 v15, 0x3b15, v3
	v_fma_f16 v8, v2, s15, -v8
	v_add_f16_e32 v8, v8, v9
	v_fma_f16 v9, v4, s16, v15
	v_add_f16_e32 v9, v9, v10
	v_mul_f16_e32 v10, 0xb94e, v5
	v_add_f16_e32 v17, v18, v17
	v_fma_f16 v18, v4, s14, v15
	v_fma_f16 v15, v2, s21, v10
	v_add_f16_e32 v15, v15, v16
	v_mul_f16_e32 v16, 0xb9fd, v3
	v_fma_f16 v10, v2, s21, -v10
	v_fma_f16 v19, v4, s22, v16
	v_add_f16_e32 v10, v10, v11
	v_fma_f16 v11, v4, s20, v16
	v_mul_f16_e32 v16, 0x3a95, v5
	v_add_f16_e32 v18, v18, v20
	v_fma_f16 v20, v2, s4, v16
	v_fma_f16 v16, v2, s4, -v16
	v_add_f16_e32 v11, v11, v21
	v_mul_f16_e32 v21, 0x388b, v3
	v_add_f16_e32 v16, v16, v22
	v_mul_f16_e32 v22, 0xbb7b, v5
	v_add_f16_e32 v19, v19, v23
	v_add_f16_e32 v20, v20, v24
	v_fma_f16 v23, v4, s3, v21
	v_fma_f16 v21, v4, s5, v21
	;; [unrolled: 1-line block ×3, first 2 shown]
	v_fma_f16 v22, v2, s18, -v22
	v_mul_f16_e32 v5, 0x3bf1, v5
	v_add_f16_e32 v48, v48, v50
	v_add_f16_e32 v47, v47, v51
	;; [unrolled: 1-line block ×4, first 2 shown]
	v_mul_f16_e32 v27, 0xb5ac, v3
	v_add_f16_e32 v22, v22, v28
	v_fma_f16 v28, v2, s1, v5
	v_mul_f16_e32 v3, 0x2fb7, v3
	v_fma_f16 v2, v2, s1, -v5
	v_add_f16_e32 v44, v44, v48
	v_add_f16_e32 v42, v42, v46
	;; [unrolled: 1-line block ×5, first 2 shown]
	v_fma_f16 v2, v4, s2, v3
	v_add_f16_e32 v40, v40, v44
	v_add_f16_e32 v38, v38, v42
	;; [unrolled: 1-line block ×5, first 2 shown]
	v_pack_b32_f16 v2, v25, v26
	v_add_f16_e32 v36, v36, v40
	v_add_f16_e32 v34, v34, v38
	;; [unrolled: 1-line block ×6, first 2 shown]
	v_fma_f16 v31, v4, s19, v27
	v_fma_f16 v27, v4, s17, v27
	;; [unrolled: 1-line block ×3, first 2 shown]
	ds_write_b32 v32, v2
	v_pack_b32_f16 v2, v13, v17
	v_pack_b32_f16 v3, v14, v18
	v_add_f16_e32 v31, v31, v36
	v_add_f16_e32 v27, v27, v34
	;; [unrolled: 1-line block ×4, first 2 shown]
	ds_write2_b32 v32, v2, v3 offset0:34 offset1:68
	v_pack_b32_f16 v2, v15, v19
	v_pack_b32_f16 v3, v20, v23
	ds_write2_b32 v32, v2, v3 offset0:102 offset1:136
	v_pack_b32_f16 v2, v24, v31
	v_pack_b32_f16 v3, v28, v33
	;; [unrolled: 1-line block ×4, first 2 shown]
	v_add_u32_e32 v4, 0x200, v32
	ds_write2_b32 v32, v2, v3 offset0:170 offset1:204
	ds_write2_b32 v4, v0, v1 offset0:110 offset1:144
	v_pack_b32_f16 v0, v16, v21
	v_pack_b32_f16 v1, v10, v11
	v_add_u32_e32 v3, 0x400, v32
	ds_write2_b32 v3, v0, v1 offset0:50 offset1:84
	v_pack_b32_f16 v0, v8, v9
	v_pack_b32_f16 v1, v6, v7
	ds_write2_b32 v3, v0, v1 offset0:118 offset1:152
	s_waitcnt lgkmcnt(0)
	s_barrier
	s_and_b64 exec, exec, vcc
	s_cbranch_execz .LBB0_23
; %bb.22:
	global_load_dword v10, v30, s[6:7]
	v_mad_u64_u32 v[1:2], s[0:1], s10, v12, 0
	v_mad_u64_u32 v[5:6], s[0:1], s8, v29, 0
	;; [unrolled: 1-line block ×3, first 2 shown]
	ds_read_b32 v11, v32
	s_mov_b32 s14, 0x1288b013
	v_mad_u64_u32 v[8:9], s[0:1], s9, v29, v[6:7]
	v_mov_b32_e32 v2, v7
	s_waitcnt lgkmcnt(0)
	v_lshrrev_b32_e32 v9, 16, v11
	v_mov_b32_e32 v6, v8
	s_mov_b32 s15, 0x3f6288b0
	v_lshlrev_b64 v[1:2], 2, v[1:2]
	v_mov_b32_e32 v12, s13
	v_lshlrev_b64 v[5:6], 2, v[5:6]
	v_add_co_u32_e32 v1, vcc, s12, v1
	v_addc_co_u32_e32 v2, vcc, v12, v2, vcc
	s_movk_i32 s16, 0x1ff
	v_add_co_u32_e32 v5, vcc, v1, v5
	v_addc_co_u32_e32 v6, vcc, v2, v6, vcc
	s_movk_i32 s10, 0xffe
	v_mov_b32_e32 v0, 0x7c00
	s_movk_i32 s18, 0x40f
	s_mov_b32 s17, 0x8000
	s_mul_hi_u32 s12, s8, 0x68
	s_mul_i32 s11, s8, 0x68
	s_waitcnt vmcnt(0)
	v_mul_f16_sdwa v7, v9, v10 dst_sel:DWORD dst_unused:UNUSED_PAD src0_sel:DWORD src1_sel:WORD_1
	v_fma_f16 v7, v11, v10, v7
	v_mul_f16_sdwa v8, v11, v10 dst_sel:DWORD dst_unused:UNUSED_PAD src0_sel:DWORD src1_sel:WORD_1
	v_cvt_f32_f16_e32 v7, v7
	v_fma_f16 v8, v10, v9, -v8
	v_cvt_f32_f16_e32 v9, v8
	v_cvt_f64_f32_e32 v[7:8], v7
	v_cvt_f64_f32_e32 v[9:10], v9
	v_mul_f64 v[7:8], v[7:8], s[14:15]
	v_mul_f64 v[9:10], v[9:10], s[14:15]
	v_and_or_b32 v7, v8, s16, v7
	v_cmp_ne_u32_e32 vcc, 0, v7
	v_and_or_b32 v9, v10, s16, v9
	v_lshrrev_b32_e32 v11, 8, v8
	v_bfe_u32 v12, v8, 20, 11
	v_cndmask_b32_e64 v7, 0, 1, vcc
	v_cmp_ne_u32_e32 vcc, 0, v9
	v_lshrrev_b32_e32 v13, 8, v10
	v_bfe_u32 v14, v10, 20, 11
	v_sub_u32_e32 v15, 0x3f1, v12
	v_cndmask_b32_e64 v9, 0, 1, vcc
	v_and_or_b32 v7, v11, s10, v7
	v_sub_u32_e32 v16, 0x3f1, v14
	v_med3_i32 v11, v15, 0, 13
	v_and_or_b32 v9, v13, s10, v9
	v_or_b32_e32 v15, 0x1000, v7
	v_add_u32_e32 v12, 0xfffffc10, v12
	v_med3_i32 v13, v16, 0, 13
	v_cmp_ne_u32_e32 vcc, 0, v7
	v_or_b32_e32 v17, 0x1000, v9
	v_lshrrev_b32_e32 v19, v11, v15
	v_add_u32_e32 v14, 0xfffffc10, v14
	v_lshl_or_b32 v16, v12, 12, v7
	v_cndmask_b32_e64 v7, 0, 1, vcc
	v_cmp_ne_u32_e32 vcc, 0, v9
	v_lshrrev_b32_e32 v20, v13, v17
	v_lshlrev_b32_e32 v11, v11, v19
	v_lshl_or_b32 v18, v14, 12, v9
	v_cndmask_b32_e64 v9, 0, 1, vcc
	v_lshlrev_b32_e32 v13, v13, v20
	v_cmp_ne_u32_e32 vcc, v11, v15
	v_cndmask_b32_e64 v11, 0, 1, vcc
	v_cmp_ne_u32_e32 vcc, v13, v17
	v_cndmask_b32_e64 v13, 0, 1, vcc
	v_or_b32_e32 v11, v19, v11
	v_cmp_gt_i32_e32 vcc, 1, v12
	v_cndmask_b32_e32 v11, v16, v11, vcc
	v_or_b32_e32 v13, v20, v13
	v_cmp_gt_i32_e32 vcc, 1, v14
	v_and_b32_e32 v15, 7, v11
	v_cndmask_b32_e32 v13, v18, v13, vcc
	v_cmp_lt_i32_e32 vcc, 5, v15
	v_cmp_eq_u32_e64 s[0:1], 3, v15
	v_lshrrev_b32_e32 v11, 2, v11
	v_and_b32_e32 v16, 7, v13
	s_or_b64 vcc, s[0:1], vcc
	v_cmp_lt_i32_e64 s[2:3], 5, v16
	v_cmp_eq_u32_e64 s[4:5], 3, v16
	v_addc_co_u32_e32 v11, vcc, 0, v11, vcc
	v_lshrrev_b32_e32 v13, 2, v13
	s_or_b64 vcc, s[4:5], s[2:3]
	v_addc_co_u32_e32 v13, vcc, 0, v13, vcc
	v_cmp_gt_i32_e32 vcc, 31, v12
	v_cndmask_b32_e32 v11, v0, v11, vcc
	v_cmp_gt_i32_e32 vcc, 31, v14
	v_lshl_or_b32 v7, v7, 9, v0
	v_cndmask_b32_e32 v13, v0, v13, vcc
	v_cmp_eq_u32_e32 vcc, s18, v12
	v_lshrrev_b32_e32 v8, 16, v8
	v_lshl_or_b32 v9, v9, 9, v0
	v_cndmask_b32_e32 v7, v11, v7, vcc
	v_cmp_eq_u32_e32 vcc, s18, v14
	v_lshrrev_b32_e32 v10, 16, v10
	v_cndmask_b32_e32 v9, v13, v9, vcc
	v_and_or_b32 v7, v8, s17, v7
	v_and_or_b32 v8, v10, s17, v9
	v_and_b32_e32 v7, 0xffff, v7
	v_lshl_or_b32 v7, v8, 16, v7
	global_store_dword v[5:6], v7, off
	global_load_dword v9, v30, s[6:7] offset:104
	ds_read2_b32 v[7:8], v32 offset0:26 offset1:52
	s_mul_i32 s0, s9, 0x68
	s_add_i32 s12, s12, s0
	v_add_co_u32_e32 v5, vcc, s11, v5
	s_waitcnt lgkmcnt(0)
	v_lshrrev_b32_e32 v10, 16, v7
	s_waitcnt vmcnt(0)
	v_mul_f16_sdwa v11, v10, v9 dst_sel:DWORD dst_unused:UNUSED_PAD src0_sel:DWORD src1_sel:WORD_1
	v_fma_f16 v11, v7, v9, v11
	v_mul_f16_sdwa v7, v7, v9 dst_sel:DWORD dst_unused:UNUSED_PAD src0_sel:DWORD src1_sel:WORD_1
	v_cvt_f32_f16_e32 v11, v11
	v_fma_f16 v7, v9, v10, -v7
	v_cvt_f32_f16_e32 v7, v7
	v_cvt_f64_f32_e32 v[9:10], v11
	v_cvt_f64_f32_e32 v[11:12], v7
	v_mov_b32_e32 v7, s12
	v_mul_f64 v[9:10], v[9:10], s[14:15]
	v_addc_co_u32_e32 v6, vcc, v6, v7, vcc
	v_mul_f64 v[11:12], v[11:12], s[14:15]
	v_and_or_b32 v7, v10, s16, v9
	v_cmp_ne_u32_e32 vcc, 0, v7
	v_lshrrev_b32_e32 v9, 8, v10
	v_and_or_b32 v11, v12, s16, v11
	v_bfe_u32 v13, v10, 20, 11
	v_cndmask_b32_e64 v7, 0, 1, vcc
	v_cmp_ne_u32_e32 vcc, 0, v11
	v_lshrrev_b32_e32 v14, 8, v12
	v_bfe_u32 v15, v12, 20, 11
	v_sub_u32_e32 v16, 0x3f1, v13
	v_cndmask_b32_e64 v11, 0, 1, vcc
	v_and_or_b32 v7, v9, s10, v7
	v_sub_u32_e32 v17, 0x3f1, v15
	v_med3_i32 v9, v16, 0, 13
	v_and_or_b32 v11, v14, s10, v11
	v_or_b32_e32 v16, 0x1000, v7
	v_add_u32_e32 v13, 0xfffffc10, v13
	v_med3_i32 v14, v17, 0, 13
	v_cmp_ne_u32_e32 vcc, 0, v7
	v_or_b32_e32 v18, 0x1000, v11
	v_lshrrev_b32_e32 v20, v9, v16
	v_add_u32_e32 v15, 0xfffffc10, v15
	v_lshl_or_b32 v17, v13, 12, v7
	v_cndmask_b32_e64 v7, 0, 1, vcc
	v_cmp_ne_u32_e32 vcc, 0, v11
	v_lshrrev_b32_e32 v21, v14, v18
	v_lshlrev_b32_e32 v9, v9, v20
	v_lshl_or_b32 v19, v15, 12, v11
	v_cndmask_b32_e64 v11, 0, 1, vcc
	v_lshlrev_b32_e32 v14, v14, v21
	v_cmp_ne_u32_e32 vcc, v9, v16
	v_cndmask_b32_e64 v9, 0, 1, vcc
	v_cmp_ne_u32_e32 vcc, v14, v18
	v_cndmask_b32_e64 v14, 0, 1, vcc
	v_or_b32_e32 v9, v20, v9
	v_cmp_gt_i32_e32 vcc, 1, v13
	v_cndmask_b32_e32 v9, v17, v9, vcc
	v_or_b32_e32 v14, v21, v14
	v_cmp_gt_i32_e32 vcc, 1, v15
	v_and_b32_e32 v16, 7, v9
	v_cndmask_b32_e32 v14, v19, v14, vcc
	v_cmp_lt_i32_e32 vcc, 5, v16
	v_cmp_eq_u32_e64 s[0:1], 3, v16
	v_lshrrev_b32_e32 v9, 2, v9
	v_and_b32_e32 v17, 7, v14
	s_or_b64 vcc, s[0:1], vcc
	v_cmp_lt_i32_e64 s[2:3], 5, v17
	v_cmp_eq_u32_e64 s[4:5], 3, v17
	v_addc_co_u32_e32 v9, vcc, 0, v9, vcc
	v_lshrrev_b32_e32 v14, 2, v14
	s_or_b64 vcc, s[4:5], s[2:3]
	v_addc_co_u32_e32 v14, vcc, 0, v14, vcc
	v_cmp_gt_i32_e32 vcc, 31, v13
	v_cndmask_b32_e32 v9, v0, v9, vcc
	v_cmp_gt_i32_e32 vcc, 31, v15
	v_lshl_or_b32 v7, v7, 9, v0
	v_cndmask_b32_e32 v14, v0, v14, vcc
	v_cmp_eq_u32_e32 vcc, s18, v13
	v_lshrrev_b32_e32 v10, 16, v10
	v_lshl_or_b32 v11, v11, 9, v0
	v_cndmask_b32_e32 v7, v9, v7, vcc
	v_cmp_eq_u32_e32 vcc, s18, v15
	v_lshrrev_b32_e32 v12, 16, v12
	v_cndmask_b32_e32 v9, v14, v11, vcc
	v_and_or_b32 v7, v10, s17, v7
	v_and_or_b32 v9, v12, s17, v9
	v_and_b32_e32 v7, 0xffff, v7
	v_lshl_or_b32 v7, v9, 16, v7
	global_store_dword v[5:6], v7, off
	global_load_dword v7, v30, s[6:7] offset:208
	v_lshrrev_b32_e32 v9, 16, v8
	v_mov_b32_e32 v11, s12
	v_add_co_u32_e32 v5, vcc, s11, v5
	v_addc_co_u32_e32 v6, vcc, v6, v11, vcc
	s_waitcnt vmcnt(0)
	v_mul_f16_sdwa v10, v9, v7 dst_sel:DWORD dst_unused:UNUSED_PAD src0_sel:DWORD src1_sel:WORD_1
	v_fma_f16 v10, v8, v7, v10
	v_mul_f16_sdwa v8, v8, v7 dst_sel:DWORD dst_unused:UNUSED_PAD src0_sel:DWORD src1_sel:WORD_1
	v_cvt_f32_f16_e32 v10, v10
	v_fma_f16 v7, v7, v9, -v8
	v_cvt_f32_f16_e32 v9, v7
	v_cvt_f64_f32_e32 v[7:8], v10
	v_cvt_f64_f32_e32 v[9:10], v9
	v_mul_f64 v[7:8], v[7:8], s[14:15]
	v_mul_f64 v[9:10], v[9:10], s[14:15]
	v_and_or_b32 v7, v8, s16, v7
	v_cmp_ne_u32_e32 vcc, 0, v7
	v_and_or_b32 v9, v10, s16, v9
	v_lshrrev_b32_e32 v11, 8, v8
	v_bfe_u32 v12, v8, 20, 11
	v_cndmask_b32_e64 v7, 0, 1, vcc
	v_cmp_ne_u32_e32 vcc, 0, v9
	v_lshrrev_b32_e32 v13, 8, v10
	v_bfe_u32 v14, v10, 20, 11
	v_sub_u32_e32 v15, 0x3f1, v12
	v_cndmask_b32_e64 v9, 0, 1, vcc
	v_and_or_b32 v7, v11, s10, v7
	v_sub_u32_e32 v16, 0x3f1, v14
	v_med3_i32 v11, v15, 0, 13
	v_and_or_b32 v9, v13, s10, v9
	v_or_b32_e32 v15, 0x1000, v7
	v_add_u32_e32 v12, 0xfffffc10, v12
	v_med3_i32 v13, v16, 0, 13
	v_cmp_ne_u32_e32 vcc, 0, v7
	v_or_b32_e32 v17, 0x1000, v9
	v_lshrrev_b32_e32 v19, v11, v15
	v_add_u32_e32 v14, 0xfffffc10, v14
	v_lshl_or_b32 v16, v12, 12, v7
	v_cndmask_b32_e64 v7, 0, 1, vcc
	v_cmp_ne_u32_e32 vcc, 0, v9
	v_lshrrev_b32_e32 v20, v13, v17
	v_lshlrev_b32_e32 v11, v11, v19
	v_lshl_or_b32 v18, v14, 12, v9
	v_cndmask_b32_e64 v9, 0, 1, vcc
	v_lshlrev_b32_e32 v13, v13, v20
	v_cmp_ne_u32_e32 vcc, v11, v15
	v_cndmask_b32_e64 v11, 0, 1, vcc
	v_cmp_ne_u32_e32 vcc, v13, v17
	v_cndmask_b32_e64 v13, 0, 1, vcc
	v_or_b32_e32 v11, v19, v11
	v_cmp_gt_i32_e32 vcc, 1, v12
	v_cndmask_b32_e32 v11, v16, v11, vcc
	v_or_b32_e32 v13, v20, v13
	v_cmp_gt_i32_e32 vcc, 1, v14
	v_and_b32_e32 v15, 7, v11
	v_cndmask_b32_e32 v13, v18, v13, vcc
	v_cmp_lt_i32_e32 vcc, 5, v15
	v_cmp_eq_u32_e64 s[0:1], 3, v15
	v_lshrrev_b32_e32 v11, 2, v11
	v_and_b32_e32 v16, 7, v13
	s_or_b64 vcc, s[0:1], vcc
	v_cmp_lt_i32_e64 s[2:3], 5, v16
	v_cmp_eq_u32_e64 s[4:5], 3, v16
	v_addc_co_u32_e32 v11, vcc, 0, v11, vcc
	v_lshrrev_b32_e32 v13, 2, v13
	s_or_b64 vcc, s[4:5], s[2:3]
	v_addc_co_u32_e32 v13, vcc, 0, v13, vcc
	v_cmp_gt_i32_e32 vcc, 31, v12
	v_cndmask_b32_e32 v11, v0, v11, vcc
	v_cmp_gt_i32_e32 vcc, 31, v14
	v_lshl_or_b32 v7, v7, 9, v0
	v_cndmask_b32_e32 v13, v0, v13, vcc
	v_cmp_eq_u32_e32 vcc, s18, v12
	v_lshrrev_b32_e32 v8, 16, v8
	v_lshl_or_b32 v9, v9, 9, v0
	v_cndmask_b32_e32 v7, v11, v7, vcc
	v_cmp_eq_u32_e32 vcc, s18, v14
	v_lshrrev_b32_e32 v10, 16, v10
	v_cndmask_b32_e32 v9, v13, v9, vcc
	v_and_or_b32 v7, v8, s17, v7
	v_and_or_b32 v8, v10, s17, v9
	v_and_b32_e32 v7, 0xffff, v7
	v_lshl_or_b32 v7, v8, 16, v7
	global_store_dword v[5:6], v7, off
	global_load_dword v9, v30, s[6:7] offset:312
	ds_read2_b32 v[7:8], v32 offset0:78 offset1:104
	v_add_co_u32_e32 v5, vcc, s11, v5
	s_waitcnt lgkmcnt(0)
	v_lshrrev_b32_e32 v10, 16, v7
	s_waitcnt vmcnt(0)
	v_mul_f16_sdwa v11, v10, v9 dst_sel:DWORD dst_unused:UNUSED_PAD src0_sel:DWORD src1_sel:WORD_1
	v_fma_f16 v11, v7, v9, v11
	v_mul_f16_sdwa v7, v7, v9 dst_sel:DWORD dst_unused:UNUSED_PAD src0_sel:DWORD src1_sel:WORD_1
	v_cvt_f32_f16_e32 v11, v11
	v_fma_f16 v7, v9, v10, -v7
	v_cvt_f32_f16_e32 v7, v7
	v_cvt_f64_f32_e32 v[9:10], v11
	v_cvt_f64_f32_e32 v[11:12], v7
	v_mov_b32_e32 v7, s12
	v_mul_f64 v[9:10], v[9:10], s[14:15]
	v_addc_co_u32_e32 v6, vcc, v6, v7, vcc
	v_mul_f64 v[11:12], v[11:12], s[14:15]
	v_and_or_b32 v7, v10, s16, v9
	v_cmp_ne_u32_e32 vcc, 0, v7
	v_lshrrev_b32_e32 v9, 8, v10
	v_and_or_b32 v11, v12, s16, v11
	v_bfe_u32 v13, v10, 20, 11
	v_cndmask_b32_e64 v7, 0, 1, vcc
	v_cmp_ne_u32_e32 vcc, 0, v11
	v_lshrrev_b32_e32 v14, 8, v12
	v_bfe_u32 v15, v12, 20, 11
	v_sub_u32_e32 v16, 0x3f1, v13
	v_cndmask_b32_e64 v11, 0, 1, vcc
	v_and_or_b32 v7, v9, s10, v7
	v_sub_u32_e32 v17, 0x3f1, v15
	v_med3_i32 v9, v16, 0, 13
	v_and_or_b32 v11, v14, s10, v11
	v_or_b32_e32 v16, 0x1000, v7
	v_add_u32_e32 v13, 0xfffffc10, v13
	v_med3_i32 v14, v17, 0, 13
	v_cmp_ne_u32_e32 vcc, 0, v7
	v_or_b32_e32 v18, 0x1000, v11
	v_lshrrev_b32_e32 v20, v9, v16
	v_add_u32_e32 v15, 0xfffffc10, v15
	v_lshl_or_b32 v17, v13, 12, v7
	v_cndmask_b32_e64 v7, 0, 1, vcc
	v_cmp_ne_u32_e32 vcc, 0, v11
	v_lshrrev_b32_e32 v21, v14, v18
	v_lshlrev_b32_e32 v9, v9, v20
	v_lshl_or_b32 v19, v15, 12, v11
	v_cndmask_b32_e64 v11, 0, 1, vcc
	v_lshlrev_b32_e32 v14, v14, v21
	v_cmp_ne_u32_e32 vcc, v9, v16
	v_cndmask_b32_e64 v9, 0, 1, vcc
	v_cmp_ne_u32_e32 vcc, v14, v18
	v_cndmask_b32_e64 v14, 0, 1, vcc
	v_or_b32_e32 v9, v20, v9
	v_cmp_gt_i32_e32 vcc, 1, v13
	v_cndmask_b32_e32 v9, v17, v9, vcc
	v_or_b32_e32 v14, v21, v14
	v_cmp_gt_i32_e32 vcc, 1, v15
	v_and_b32_e32 v16, 7, v9
	v_cndmask_b32_e32 v14, v19, v14, vcc
	v_cmp_lt_i32_e32 vcc, 5, v16
	v_cmp_eq_u32_e64 s[0:1], 3, v16
	v_lshrrev_b32_e32 v9, 2, v9
	v_and_b32_e32 v17, 7, v14
	s_or_b64 vcc, s[0:1], vcc
	v_cmp_lt_i32_e64 s[2:3], 5, v17
	v_cmp_eq_u32_e64 s[4:5], 3, v17
	v_addc_co_u32_e32 v9, vcc, 0, v9, vcc
	v_lshrrev_b32_e32 v14, 2, v14
	s_or_b64 vcc, s[4:5], s[2:3]
	v_addc_co_u32_e32 v14, vcc, 0, v14, vcc
	v_cmp_gt_i32_e32 vcc, 31, v13
	v_cndmask_b32_e32 v9, v0, v9, vcc
	v_cmp_gt_i32_e32 vcc, 31, v15
	v_lshl_or_b32 v7, v7, 9, v0
	v_cndmask_b32_e32 v14, v0, v14, vcc
	v_cmp_eq_u32_e32 vcc, s18, v13
	v_lshrrev_b32_e32 v10, 16, v10
	v_lshl_or_b32 v11, v11, 9, v0
	v_cndmask_b32_e32 v7, v9, v7, vcc
	v_cmp_eq_u32_e32 vcc, s18, v15
	v_lshrrev_b32_e32 v12, 16, v12
	v_cndmask_b32_e32 v9, v14, v11, vcc
	v_and_or_b32 v7, v10, s17, v7
	v_and_or_b32 v9, v12, s17, v9
	v_and_b32_e32 v7, 0xffff, v7
	v_lshl_or_b32 v7, v9, 16, v7
	global_store_dword v[5:6], v7, off
	global_load_dword v7, v30, s[6:7] offset:416
	v_lshrrev_b32_e32 v9, 16, v8
	v_mov_b32_e32 v11, s12
	v_add_co_u32_e32 v5, vcc, s11, v5
	v_addc_co_u32_e32 v6, vcc, v6, v11, vcc
	s_waitcnt vmcnt(0)
	v_mul_f16_sdwa v10, v9, v7 dst_sel:DWORD dst_unused:UNUSED_PAD src0_sel:DWORD src1_sel:WORD_1
	v_fma_f16 v10, v8, v7, v10
	v_mul_f16_sdwa v8, v8, v7 dst_sel:DWORD dst_unused:UNUSED_PAD src0_sel:DWORD src1_sel:WORD_1
	v_cvt_f32_f16_e32 v10, v10
	v_fma_f16 v7, v7, v9, -v8
	v_cvt_f32_f16_e32 v9, v7
	v_cvt_f64_f32_e32 v[7:8], v10
	v_cvt_f64_f32_e32 v[9:10], v9
	v_mul_f64 v[7:8], v[7:8], s[14:15]
	v_mul_f64 v[9:10], v[9:10], s[14:15]
	v_and_or_b32 v7, v8, s16, v7
	v_cmp_ne_u32_e32 vcc, 0, v7
	v_and_or_b32 v9, v10, s16, v9
	v_lshrrev_b32_e32 v11, 8, v8
	v_bfe_u32 v12, v8, 20, 11
	v_cndmask_b32_e64 v7, 0, 1, vcc
	v_cmp_ne_u32_e32 vcc, 0, v9
	v_lshrrev_b32_e32 v13, 8, v10
	v_bfe_u32 v14, v10, 20, 11
	v_sub_u32_e32 v15, 0x3f1, v12
	v_cndmask_b32_e64 v9, 0, 1, vcc
	v_and_or_b32 v7, v11, s10, v7
	v_sub_u32_e32 v16, 0x3f1, v14
	v_med3_i32 v11, v15, 0, 13
	v_and_or_b32 v9, v13, s10, v9
	v_or_b32_e32 v15, 0x1000, v7
	v_add_u32_e32 v12, 0xfffffc10, v12
	v_med3_i32 v13, v16, 0, 13
	v_cmp_ne_u32_e32 vcc, 0, v7
	v_or_b32_e32 v17, 0x1000, v9
	v_lshrrev_b32_e32 v19, v11, v15
	v_add_u32_e32 v14, 0xfffffc10, v14
	v_lshl_or_b32 v16, v12, 12, v7
	v_cndmask_b32_e64 v7, 0, 1, vcc
	v_cmp_ne_u32_e32 vcc, 0, v9
	v_lshrrev_b32_e32 v20, v13, v17
	v_lshlrev_b32_e32 v11, v11, v19
	v_lshl_or_b32 v18, v14, 12, v9
	v_cndmask_b32_e64 v9, 0, 1, vcc
	v_lshlrev_b32_e32 v13, v13, v20
	v_cmp_ne_u32_e32 vcc, v11, v15
	v_cndmask_b32_e64 v11, 0, 1, vcc
	v_cmp_ne_u32_e32 vcc, v13, v17
	v_cndmask_b32_e64 v13, 0, 1, vcc
	v_or_b32_e32 v11, v19, v11
	v_cmp_gt_i32_e32 vcc, 1, v12
	v_cndmask_b32_e32 v11, v16, v11, vcc
	v_or_b32_e32 v13, v20, v13
	v_cmp_gt_i32_e32 vcc, 1, v14
	v_and_b32_e32 v15, 7, v11
	v_cndmask_b32_e32 v13, v18, v13, vcc
	v_cmp_lt_i32_e32 vcc, 5, v15
	v_cmp_eq_u32_e64 s[0:1], 3, v15
	v_lshrrev_b32_e32 v11, 2, v11
	v_and_b32_e32 v16, 7, v13
	s_or_b64 vcc, s[0:1], vcc
	v_cmp_lt_i32_e64 s[2:3], 5, v16
	v_cmp_eq_u32_e64 s[4:5], 3, v16
	v_addc_co_u32_e32 v11, vcc, 0, v11, vcc
	v_lshrrev_b32_e32 v13, 2, v13
	s_or_b64 vcc, s[4:5], s[2:3]
	v_addc_co_u32_e32 v13, vcc, 0, v13, vcc
	v_cmp_gt_i32_e32 vcc, 31, v12
	v_cndmask_b32_e32 v11, v0, v11, vcc
	v_cmp_gt_i32_e32 vcc, 31, v14
	v_lshl_or_b32 v7, v7, 9, v0
	v_cndmask_b32_e32 v13, v0, v13, vcc
	v_cmp_eq_u32_e32 vcc, s18, v12
	v_lshrrev_b32_e32 v8, 16, v8
	v_lshl_or_b32 v9, v9, 9, v0
	v_cndmask_b32_e32 v7, v11, v7, vcc
	v_cmp_eq_u32_e32 vcc, s18, v14
	v_lshrrev_b32_e32 v10, 16, v10
	v_cndmask_b32_e32 v9, v13, v9, vcc
	v_and_or_b32 v7, v8, s17, v7
	v_and_or_b32 v8, v10, s17, v9
	v_and_b32_e32 v7, 0xffff, v7
	v_lshl_or_b32 v7, v8, 16, v7
	global_store_dword v[5:6], v7, off
	global_load_dword v9, v30, s[6:7] offset:520
	ds_read2_b32 v[7:8], v32 offset0:130 offset1:156
	v_add_co_u32_e32 v5, vcc, s11, v5
	s_waitcnt lgkmcnt(0)
	v_lshrrev_b32_e32 v10, 16, v7
	s_waitcnt vmcnt(0)
	v_mul_f16_sdwa v11, v10, v9 dst_sel:DWORD dst_unused:UNUSED_PAD src0_sel:DWORD src1_sel:WORD_1
	v_fma_f16 v11, v7, v9, v11
	v_mul_f16_sdwa v7, v7, v9 dst_sel:DWORD dst_unused:UNUSED_PAD src0_sel:DWORD src1_sel:WORD_1
	v_cvt_f32_f16_e32 v11, v11
	v_fma_f16 v7, v9, v10, -v7
	v_cvt_f32_f16_e32 v7, v7
	v_cvt_f64_f32_e32 v[9:10], v11
	v_cvt_f64_f32_e32 v[11:12], v7
	v_mov_b32_e32 v7, s12
	v_mul_f64 v[9:10], v[9:10], s[14:15]
	v_addc_co_u32_e32 v6, vcc, v6, v7, vcc
	v_mul_f64 v[11:12], v[11:12], s[14:15]
	v_and_or_b32 v7, v10, s16, v9
	v_cmp_ne_u32_e32 vcc, 0, v7
	v_lshrrev_b32_e32 v9, 8, v10
	v_and_or_b32 v11, v12, s16, v11
	v_bfe_u32 v13, v10, 20, 11
	v_cndmask_b32_e64 v7, 0, 1, vcc
	v_cmp_ne_u32_e32 vcc, 0, v11
	v_lshrrev_b32_e32 v14, 8, v12
	v_bfe_u32 v15, v12, 20, 11
	v_sub_u32_e32 v16, 0x3f1, v13
	v_cndmask_b32_e64 v11, 0, 1, vcc
	v_and_or_b32 v7, v9, s10, v7
	v_sub_u32_e32 v17, 0x3f1, v15
	v_med3_i32 v9, v16, 0, 13
	v_and_or_b32 v11, v14, s10, v11
	v_or_b32_e32 v16, 0x1000, v7
	v_add_u32_e32 v13, 0xfffffc10, v13
	v_med3_i32 v14, v17, 0, 13
	v_cmp_ne_u32_e32 vcc, 0, v7
	v_or_b32_e32 v18, 0x1000, v11
	v_lshrrev_b32_e32 v20, v9, v16
	v_add_u32_e32 v15, 0xfffffc10, v15
	v_lshl_or_b32 v17, v13, 12, v7
	v_cndmask_b32_e64 v7, 0, 1, vcc
	v_cmp_ne_u32_e32 vcc, 0, v11
	v_lshrrev_b32_e32 v21, v14, v18
	v_lshlrev_b32_e32 v9, v9, v20
	v_lshl_or_b32 v19, v15, 12, v11
	v_cndmask_b32_e64 v11, 0, 1, vcc
	v_lshlrev_b32_e32 v14, v14, v21
	v_cmp_ne_u32_e32 vcc, v9, v16
	v_cndmask_b32_e64 v9, 0, 1, vcc
	v_cmp_ne_u32_e32 vcc, v14, v18
	v_cndmask_b32_e64 v14, 0, 1, vcc
	v_or_b32_e32 v9, v20, v9
	v_cmp_gt_i32_e32 vcc, 1, v13
	v_cndmask_b32_e32 v9, v17, v9, vcc
	v_or_b32_e32 v14, v21, v14
	v_cmp_gt_i32_e32 vcc, 1, v15
	v_and_b32_e32 v16, 7, v9
	v_cndmask_b32_e32 v14, v19, v14, vcc
	v_cmp_lt_i32_e32 vcc, 5, v16
	v_cmp_eq_u32_e64 s[0:1], 3, v16
	v_lshrrev_b32_e32 v9, 2, v9
	v_and_b32_e32 v17, 7, v14
	s_or_b64 vcc, s[0:1], vcc
	v_cmp_lt_i32_e64 s[2:3], 5, v17
	v_cmp_eq_u32_e64 s[4:5], 3, v17
	v_addc_co_u32_e32 v9, vcc, 0, v9, vcc
	v_lshrrev_b32_e32 v14, 2, v14
	s_or_b64 vcc, s[4:5], s[2:3]
	v_addc_co_u32_e32 v14, vcc, 0, v14, vcc
	v_cmp_gt_i32_e32 vcc, 31, v13
	v_cndmask_b32_e32 v9, v0, v9, vcc
	v_cmp_gt_i32_e32 vcc, 31, v15
	v_lshl_or_b32 v7, v7, 9, v0
	v_cndmask_b32_e32 v14, v0, v14, vcc
	v_cmp_eq_u32_e32 vcc, s18, v13
	v_lshrrev_b32_e32 v10, 16, v10
	v_lshl_or_b32 v11, v11, 9, v0
	v_cndmask_b32_e32 v7, v9, v7, vcc
	v_cmp_eq_u32_e32 vcc, s18, v15
	v_lshrrev_b32_e32 v12, 16, v12
	v_cndmask_b32_e32 v9, v14, v11, vcc
	v_and_or_b32 v7, v10, s17, v7
	v_and_or_b32 v9, v12, s17, v9
	v_and_b32_e32 v7, 0xffff, v7
	v_lshl_or_b32 v7, v9, 16, v7
	global_store_dword v[5:6], v7, off
	global_load_dword v7, v30, s[6:7] offset:624
	v_lshrrev_b32_e32 v9, 16, v8
	v_mov_b32_e32 v11, s12
	v_add_co_u32_e32 v5, vcc, s11, v5
	v_addc_co_u32_e32 v6, vcc, v6, v11, vcc
	s_waitcnt vmcnt(0)
	v_mul_f16_sdwa v10, v9, v7 dst_sel:DWORD dst_unused:UNUSED_PAD src0_sel:DWORD src1_sel:WORD_1
	v_fma_f16 v10, v8, v7, v10
	v_mul_f16_sdwa v8, v8, v7 dst_sel:DWORD dst_unused:UNUSED_PAD src0_sel:DWORD src1_sel:WORD_1
	v_cvt_f32_f16_e32 v10, v10
	v_fma_f16 v7, v7, v9, -v8
	v_cvt_f32_f16_e32 v9, v7
	v_cvt_f64_f32_e32 v[7:8], v10
	v_cvt_f64_f32_e32 v[9:10], v9
	v_mul_f64 v[7:8], v[7:8], s[14:15]
	v_mul_f64 v[9:10], v[9:10], s[14:15]
	v_and_or_b32 v7, v8, s16, v7
	v_cmp_ne_u32_e32 vcc, 0, v7
	v_and_or_b32 v9, v10, s16, v9
	v_lshrrev_b32_e32 v11, 8, v8
	v_bfe_u32 v12, v8, 20, 11
	v_cndmask_b32_e64 v7, 0, 1, vcc
	v_cmp_ne_u32_e32 vcc, 0, v9
	v_lshrrev_b32_e32 v13, 8, v10
	v_bfe_u32 v14, v10, 20, 11
	v_sub_u32_e32 v15, 0x3f1, v12
	v_cndmask_b32_e64 v9, 0, 1, vcc
	v_and_or_b32 v7, v11, s10, v7
	v_sub_u32_e32 v16, 0x3f1, v14
	v_med3_i32 v11, v15, 0, 13
	v_and_or_b32 v9, v13, s10, v9
	v_or_b32_e32 v15, 0x1000, v7
	v_add_u32_e32 v12, 0xfffffc10, v12
	v_med3_i32 v13, v16, 0, 13
	v_cmp_ne_u32_e32 vcc, 0, v7
	v_or_b32_e32 v17, 0x1000, v9
	v_lshrrev_b32_e32 v19, v11, v15
	v_add_u32_e32 v14, 0xfffffc10, v14
	v_lshl_or_b32 v16, v12, 12, v7
	v_cndmask_b32_e64 v7, 0, 1, vcc
	v_cmp_ne_u32_e32 vcc, 0, v9
	v_lshrrev_b32_e32 v20, v13, v17
	v_lshlrev_b32_e32 v11, v11, v19
	v_lshl_or_b32 v18, v14, 12, v9
	v_cndmask_b32_e64 v9, 0, 1, vcc
	v_lshlrev_b32_e32 v13, v13, v20
	v_cmp_ne_u32_e32 vcc, v11, v15
	v_cndmask_b32_e64 v11, 0, 1, vcc
	v_cmp_ne_u32_e32 vcc, v13, v17
	v_cndmask_b32_e64 v13, 0, 1, vcc
	v_or_b32_e32 v11, v19, v11
	v_cmp_gt_i32_e32 vcc, 1, v12
	v_cndmask_b32_e32 v11, v16, v11, vcc
	v_or_b32_e32 v13, v20, v13
	v_cmp_gt_i32_e32 vcc, 1, v14
	v_and_b32_e32 v15, 7, v11
	v_cndmask_b32_e32 v13, v18, v13, vcc
	v_cmp_lt_i32_e32 vcc, 5, v15
	v_cmp_eq_u32_e64 s[0:1], 3, v15
	v_lshrrev_b32_e32 v11, 2, v11
	v_and_b32_e32 v16, 7, v13
	s_or_b64 vcc, s[0:1], vcc
	v_cmp_lt_i32_e64 s[2:3], 5, v16
	v_cmp_eq_u32_e64 s[4:5], 3, v16
	v_addc_co_u32_e32 v11, vcc, 0, v11, vcc
	v_lshrrev_b32_e32 v13, 2, v13
	s_or_b64 vcc, s[4:5], s[2:3]
	v_addc_co_u32_e32 v13, vcc, 0, v13, vcc
	v_cmp_gt_i32_e32 vcc, 31, v12
	v_cndmask_b32_e32 v11, v0, v11, vcc
	v_cmp_gt_i32_e32 vcc, 31, v14
	v_lshl_or_b32 v7, v7, 9, v0
	v_cndmask_b32_e32 v13, v0, v13, vcc
	v_cmp_eq_u32_e32 vcc, s18, v12
	v_lshrrev_b32_e32 v8, 16, v8
	v_lshl_or_b32 v9, v9, 9, v0
	v_cndmask_b32_e32 v7, v11, v7, vcc
	v_cmp_eq_u32_e32 vcc, s18, v14
	v_lshrrev_b32_e32 v10, 16, v10
	v_cndmask_b32_e32 v9, v13, v9, vcc
	v_and_or_b32 v7, v8, s17, v7
	v_and_or_b32 v8, v10, s17, v9
	v_and_b32_e32 v7, 0xffff, v7
	v_lshl_or_b32 v7, v8, 16, v7
	global_store_dword v[5:6], v7, off
	global_load_dword v9, v30, s[6:7] offset:728
	ds_read2_b32 v[7:8], v32 offset0:182 offset1:208
	v_add_co_u32_e32 v5, vcc, s11, v5
	s_waitcnt lgkmcnt(0)
	v_lshrrev_b32_e32 v10, 16, v7
	s_waitcnt vmcnt(0)
	v_mul_f16_sdwa v11, v10, v9 dst_sel:DWORD dst_unused:UNUSED_PAD src0_sel:DWORD src1_sel:WORD_1
	v_fma_f16 v11, v7, v9, v11
	v_mul_f16_sdwa v7, v7, v9 dst_sel:DWORD dst_unused:UNUSED_PAD src0_sel:DWORD src1_sel:WORD_1
	v_cvt_f32_f16_e32 v11, v11
	v_fma_f16 v7, v9, v10, -v7
	v_cvt_f32_f16_e32 v7, v7
	v_cvt_f64_f32_e32 v[9:10], v11
	v_cvt_f64_f32_e32 v[11:12], v7
	v_mov_b32_e32 v7, s12
	v_mul_f64 v[9:10], v[9:10], s[14:15]
	v_addc_co_u32_e32 v6, vcc, v6, v7, vcc
	v_mul_f64 v[11:12], v[11:12], s[14:15]
	v_and_or_b32 v7, v10, s16, v9
	v_cmp_ne_u32_e32 vcc, 0, v7
	v_lshrrev_b32_e32 v9, 8, v10
	v_and_or_b32 v11, v12, s16, v11
	v_bfe_u32 v13, v10, 20, 11
	v_cndmask_b32_e64 v7, 0, 1, vcc
	v_cmp_ne_u32_e32 vcc, 0, v11
	v_lshrrev_b32_e32 v14, 8, v12
	v_bfe_u32 v15, v12, 20, 11
	v_sub_u32_e32 v16, 0x3f1, v13
	v_cndmask_b32_e64 v11, 0, 1, vcc
	v_and_or_b32 v7, v9, s10, v7
	v_sub_u32_e32 v17, 0x3f1, v15
	v_med3_i32 v9, v16, 0, 13
	v_and_or_b32 v11, v14, s10, v11
	v_or_b32_e32 v16, 0x1000, v7
	v_add_u32_e32 v13, 0xfffffc10, v13
	v_med3_i32 v14, v17, 0, 13
	v_cmp_ne_u32_e32 vcc, 0, v7
	v_or_b32_e32 v18, 0x1000, v11
	v_lshrrev_b32_e32 v20, v9, v16
	v_add_u32_e32 v15, 0xfffffc10, v15
	v_lshl_or_b32 v17, v13, 12, v7
	v_cndmask_b32_e64 v7, 0, 1, vcc
	v_cmp_ne_u32_e32 vcc, 0, v11
	v_lshrrev_b32_e32 v21, v14, v18
	v_lshlrev_b32_e32 v9, v9, v20
	v_lshl_or_b32 v19, v15, 12, v11
	v_cndmask_b32_e64 v11, 0, 1, vcc
	v_lshlrev_b32_e32 v14, v14, v21
	v_cmp_ne_u32_e32 vcc, v9, v16
	v_cndmask_b32_e64 v9, 0, 1, vcc
	v_cmp_ne_u32_e32 vcc, v14, v18
	v_cndmask_b32_e64 v14, 0, 1, vcc
	v_or_b32_e32 v9, v20, v9
	v_cmp_gt_i32_e32 vcc, 1, v13
	v_cndmask_b32_e32 v9, v17, v9, vcc
	v_or_b32_e32 v14, v21, v14
	v_cmp_gt_i32_e32 vcc, 1, v15
	v_and_b32_e32 v16, 7, v9
	v_cndmask_b32_e32 v14, v19, v14, vcc
	v_cmp_lt_i32_e32 vcc, 5, v16
	v_cmp_eq_u32_e64 s[0:1], 3, v16
	v_lshrrev_b32_e32 v9, 2, v9
	v_and_b32_e32 v17, 7, v14
	s_or_b64 vcc, s[0:1], vcc
	v_cmp_lt_i32_e64 s[2:3], 5, v17
	v_cmp_eq_u32_e64 s[4:5], 3, v17
	v_addc_co_u32_e32 v9, vcc, 0, v9, vcc
	v_lshrrev_b32_e32 v14, 2, v14
	s_or_b64 vcc, s[4:5], s[2:3]
	v_addc_co_u32_e32 v14, vcc, 0, v14, vcc
	v_cmp_gt_i32_e32 vcc, 31, v13
	v_cndmask_b32_e32 v9, v0, v9, vcc
	v_cmp_gt_i32_e32 vcc, 31, v15
	v_lshl_or_b32 v7, v7, 9, v0
	v_cndmask_b32_e32 v14, v0, v14, vcc
	v_cmp_eq_u32_e32 vcc, s18, v13
	v_lshrrev_b32_e32 v10, 16, v10
	v_lshl_or_b32 v11, v11, 9, v0
	v_cndmask_b32_e32 v7, v9, v7, vcc
	v_cmp_eq_u32_e32 vcc, s18, v15
	v_lshrrev_b32_e32 v12, 16, v12
	v_cndmask_b32_e32 v9, v14, v11, vcc
	v_and_or_b32 v7, v10, s17, v7
	v_and_or_b32 v9, v12, s17, v9
	v_and_b32_e32 v7, 0xffff, v7
	v_lshl_or_b32 v7, v9, 16, v7
	global_store_dword v[5:6], v7, off
	global_load_dword v7, v30, s[6:7] offset:832
	v_lshrrev_b32_e32 v9, 16, v8
	v_mov_b32_e32 v11, s12
	v_add_co_u32_e32 v5, vcc, s11, v5
	v_addc_co_u32_e32 v6, vcc, v6, v11, vcc
	s_waitcnt vmcnt(0)
	v_mul_f16_sdwa v10, v9, v7 dst_sel:DWORD dst_unused:UNUSED_PAD src0_sel:DWORD src1_sel:WORD_1
	v_fma_f16 v10, v8, v7, v10
	v_mul_f16_sdwa v8, v8, v7 dst_sel:DWORD dst_unused:UNUSED_PAD src0_sel:DWORD src1_sel:WORD_1
	v_cvt_f32_f16_e32 v10, v10
	v_fma_f16 v7, v7, v9, -v8
	v_cvt_f32_f16_e32 v9, v7
	v_cvt_f64_f32_e32 v[7:8], v10
	v_cvt_f64_f32_e32 v[9:10], v9
	v_mul_f64 v[7:8], v[7:8], s[14:15]
	v_mul_f64 v[9:10], v[9:10], s[14:15]
	v_and_or_b32 v7, v8, s16, v7
	v_cmp_ne_u32_e32 vcc, 0, v7
	v_and_or_b32 v9, v10, s16, v9
	v_lshrrev_b32_e32 v11, 8, v8
	v_bfe_u32 v12, v8, 20, 11
	v_cndmask_b32_e64 v7, 0, 1, vcc
	v_cmp_ne_u32_e32 vcc, 0, v9
	v_lshrrev_b32_e32 v13, 8, v10
	v_bfe_u32 v14, v10, 20, 11
	v_sub_u32_e32 v15, 0x3f1, v12
	v_cndmask_b32_e64 v9, 0, 1, vcc
	v_and_or_b32 v7, v11, s10, v7
	v_sub_u32_e32 v16, 0x3f1, v14
	v_med3_i32 v11, v15, 0, 13
	v_and_or_b32 v9, v13, s10, v9
	v_or_b32_e32 v15, 0x1000, v7
	v_add_u32_e32 v12, 0xfffffc10, v12
	v_med3_i32 v13, v16, 0, 13
	v_cmp_ne_u32_e32 vcc, 0, v7
	v_or_b32_e32 v17, 0x1000, v9
	v_lshrrev_b32_e32 v19, v11, v15
	v_add_u32_e32 v14, 0xfffffc10, v14
	v_lshl_or_b32 v16, v12, 12, v7
	v_cndmask_b32_e64 v7, 0, 1, vcc
	v_cmp_ne_u32_e32 vcc, 0, v9
	v_lshrrev_b32_e32 v20, v13, v17
	v_lshlrev_b32_e32 v11, v11, v19
	v_lshl_or_b32 v18, v14, 12, v9
	v_cndmask_b32_e64 v9, 0, 1, vcc
	v_lshlrev_b32_e32 v13, v13, v20
	v_cmp_ne_u32_e32 vcc, v11, v15
	v_cndmask_b32_e64 v11, 0, 1, vcc
	v_cmp_ne_u32_e32 vcc, v13, v17
	v_cndmask_b32_e64 v13, 0, 1, vcc
	v_or_b32_e32 v11, v19, v11
	v_cmp_gt_i32_e32 vcc, 1, v12
	v_cndmask_b32_e32 v11, v16, v11, vcc
	v_or_b32_e32 v13, v20, v13
	v_cmp_gt_i32_e32 vcc, 1, v14
	v_and_b32_e32 v15, 7, v11
	v_cndmask_b32_e32 v13, v18, v13, vcc
	v_cmp_lt_i32_e32 vcc, 5, v15
	v_cmp_eq_u32_e64 s[0:1], 3, v15
	v_lshrrev_b32_e32 v11, 2, v11
	v_and_b32_e32 v16, 7, v13
	s_or_b64 vcc, s[0:1], vcc
	v_cmp_lt_i32_e64 s[2:3], 5, v16
	v_cmp_eq_u32_e64 s[4:5], 3, v16
	v_addc_co_u32_e32 v11, vcc, 0, v11, vcc
	v_lshrrev_b32_e32 v13, 2, v13
	s_or_b64 vcc, s[4:5], s[2:3]
	v_addc_co_u32_e32 v13, vcc, 0, v13, vcc
	v_cmp_gt_i32_e32 vcc, 31, v12
	v_cndmask_b32_e32 v11, v0, v11, vcc
	v_cmp_gt_i32_e32 vcc, 31, v14
	v_lshl_or_b32 v7, v7, 9, v0
	v_cndmask_b32_e32 v13, v0, v13, vcc
	v_cmp_eq_u32_e32 vcc, s18, v12
	v_lshrrev_b32_e32 v8, 16, v8
	v_lshl_or_b32 v9, v9, 9, v0
	v_cndmask_b32_e32 v7, v11, v7, vcc
	v_cmp_eq_u32_e32 vcc, s18, v14
	v_lshrrev_b32_e32 v10, 16, v10
	v_cndmask_b32_e32 v9, v13, v9, vcc
	v_and_or_b32 v7, v8, s17, v7
	v_and_or_b32 v8, v10, s17, v9
	v_and_b32_e32 v7, 0xffff, v7
	v_lshl_or_b32 v7, v8, 16, v7
	global_store_dword v[5:6], v7, off
	global_load_dword v9, v30, s[6:7] offset:936
	ds_read2_b32 v[7:8], v4 offset0:106 offset1:132
	s_waitcnt lgkmcnt(0)
	v_lshrrev_b32_e32 v4, 16, v7
	s_waitcnt vmcnt(0)
	v_mul_f16_sdwa v10, v4, v9 dst_sel:DWORD dst_unused:UNUSED_PAD src0_sel:DWORD src1_sel:WORD_1
	v_fma_f16 v10, v7, v9, v10
	v_mul_f16_sdwa v7, v7, v9 dst_sel:DWORD dst_unused:UNUSED_PAD src0_sel:DWORD src1_sel:WORD_1
	v_cvt_f32_f16_e32 v10, v10
	v_fma_f16 v4, v9, v4, -v7
	v_cvt_f32_f16_e32 v4, v4
	v_mov_b32_e32 v7, s12
	v_cvt_f64_f32_e32 v[9:10], v10
	v_cvt_f64_f32_e32 v[11:12], v4
	v_add_co_u32_e32 v4, vcc, s11, v5
	v_mul_f64 v[9:10], v[9:10], s[14:15]
	v_mul_f64 v[11:12], v[11:12], s[14:15]
	v_addc_co_u32_e32 v5, vcc, v6, v7, vcc
	v_and_or_b32 v6, v10, s16, v9
	v_and_or_b32 v11, v12, s16, v11
	v_cmp_ne_u32_e32 vcc, 0, v6
	v_lshrrev_b32_e32 v7, 8, v10
	v_bfe_u32 v9, v10, 20, 11
	v_cndmask_b32_e64 v6, 0, 1, vcc
	v_cmp_ne_u32_e32 vcc, 0, v11
	v_lshrrev_b32_e32 v13, 8, v12
	v_bfe_u32 v14, v12, 20, 11
	v_sub_u32_e32 v15, 0x3f1, v9
	v_cndmask_b32_e64 v11, 0, 1, vcc
	v_and_or_b32 v6, v7, s10, v6
	v_sub_u32_e32 v16, 0x3f1, v14
	v_med3_i32 v7, v15, 0, 13
	v_and_or_b32 v11, v13, s10, v11
	v_or_b32_e32 v15, 0x1000, v6
	v_add_u32_e32 v9, 0xfffffc10, v9
	v_med3_i32 v13, v16, 0, 13
	v_cmp_ne_u32_e32 vcc, 0, v6
	v_or_b32_e32 v17, 0x1000, v11
	v_lshrrev_b32_e32 v19, v7, v15
	v_add_u32_e32 v14, 0xfffffc10, v14
	v_lshl_or_b32 v16, v9, 12, v6
	v_cndmask_b32_e64 v6, 0, 1, vcc
	v_cmp_ne_u32_e32 vcc, 0, v11
	v_lshrrev_b32_e32 v20, v13, v17
	v_lshlrev_b32_e32 v7, v7, v19
	v_lshl_or_b32 v18, v14, 12, v11
	v_cndmask_b32_e64 v11, 0, 1, vcc
	v_lshlrev_b32_e32 v13, v13, v20
	v_cmp_ne_u32_e32 vcc, v7, v15
	v_cndmask_b32_e64 v7, 0, 1, vcc
	v_cmp_ne_u32_e32 vcc, v13, v17
	v_cndmask_b32_e64 v13, 0, 1, vcc
	v_or_b32_e32 v7, v19, v7
	v_cmp_gt_i32_e32 vcc, 1, v9
	v_cndmask_b32_e32 v7, v16, v7, vcc
	v_or_b32_e32 v13, v20, v13
	v_cmp_gt_i32_e32 vcc, 1, v14
	v_and_b32_e32 v15, 7, v7
	v_cndmask_b32_e32 v13, v18, v13, vcc
	v_cmp_lt_i32_e32 vcc, 5, v15
	v_cmp_eq_u32_e64 s[0:1], 3, v15
	v_lshrrev_b32_e32 v7, 2, v7
	v_and_b32_e32 v16, 7, v13
	s_or_b64 vcc, s[0:1], vcc
	v_cmp_lt_i32_e64 s[2:3], 5, v16
	v_cmp_eq_u32_e64 s[4:5], 3, v16
	v_addc_co_u32_e32 v7, vcc, 0, v7, vcc
	v_lshrrev_b32_e32 v13, 2, v13
	s_or_b64 vcc, s[4:5], s[2:3]
	v_addc_co_u32_e32 v13, vcc, 0, v13, vcc
	v_cmp_gt_i32_e32 vcc, 31, v9
	v_cndmask_b32_e32 v7, v0, v7, vcc
	v_cmp_gt_i32_e32 vcc, 31, v14
	v_lshl_or_b32 v6, v6, 9, v0
	v_cndmask_b32_e32 v13, v0, v13, vcc
	v_cmp_eq_u32_e32 vcc, s18, v9
	v_lshrrev_b32_e32 v10, 16, v10
	v_lshl_or_b32 v11, v11, 9, v0
	v_cndmask_b32_e32 v6, v7, v6, vcc
	v_cmp_eq_u32_e32 vcc, s18, v14
	v_lshrrev_b32_e32 v12, 16, v12
	v_cndmask_b32_e32 v7, v13, v11, vcc
	v_and_or_b32 v6, v10, s17, v6
	v_and_or_b32 v7, v12, s17, v7
	v_and_b32_e32 v6, 0xffff, v6
	v_lshl_or_b32 v6, v7, 16, v6
	global_store_dword v[4:5], v6, off
	global_load_dword v6, v30, s[6:7] offset:1040
	v_lshrrev_b32_e32 v7, 16, v8
	v_mov_b32_e32 v10, s12
	v_add_co_u32_e32 v4, vcc, s11, v4
	v_addc_co_u32_e32 v5, vcc, v5, v10, vcc
	s_waitcnt vmcnt(0)
	v_mul_f16_sdwa v9, v7, v6 dst_sel:DWORD dst_unused:UNUSED_PAD src0_sel:DWORD src1_sel:WORD_1
	v_fma_f16 v9, v8, v6, v9
	v_mul_f16_sdwa v8, v8, v6 dst_sel:DWORD dst_unused:UNUSED_PAD src0_sel:DWORD src1_sel:WORD_1
	v_cvt_f32_f16_e32 v9, v9
	v_fma_f16 v6, v6, v7, -v8
	v_cvt_f32_f16_e32 v8, v6
	v_cvt_f64_f32_e32 v[6:7], v9
	v_cvt_f64_f32_e32 v[8:9], v8
	v_mul_f64 v[6:7], v[6:7], s[14:15]
	v_mul_f64 v[8:9], v[8:9], s[14:15]
	v_and_or_b32 v6, v7, s16, v6
	v_cmp_ne_u32_e32 vcc, 0, v6
	v_and_or_b32 v8, v9, s16, v8
	v_lshrrev_b32_e32 v10, 8, v7
	v_bfe_u32 v11, v7, 20, 11
	v_cndmask_b32_e64 v6, 0, 1, vcc
	v_cmp_ne_u32_e32 vcc, 0, v8
	v_lshrrev_b32_e32 v12, 8, v9
	v_bfe_u32 v13, v9, 20, 11
	v_sub_u32_e32 v14, 0x3f1, v11
	v_cndmask_b32_e64 v8, 0, 1, vcc
	v_and_or_b32 v6, v10, s10, v6
	v_sub_u32_e32 v15, 0x3f1, v13
	v_med3_i32 v10, v14, 0, 13
	v_and_or_b32 v8, v12, s10, v8
	v_or_b32_e32 v14, 0x1000, v6
	v_add_u32_e32 v11, 0xfffffc10, v11
	v_med3_i32 v12, v15, 0, 13
	v_cmp_ne_u32_e32 vcc, 0, v6
	v_or_b32_e32 v16, 0x1000, v8
	v_lshrrev_b32_e32 v18, v10, v14
	v_add_u32_e32 v13, 0xfffffc10, v13
	v_lshl_or_b32 v15, v11, 12, v6
	v_cndmask_b32_e64 v6, 0, 1, vcc
	v_cmp_ne_u32_e32 vcc, 0, v8
	v_lshrrev_b32_e32 v19, v12, v16
	v_lshlrev_b32_e32 v10, v10, v18
	v_lshl_or_b32 v17, v13, 12, v8
	v_cndmask_b32_e64 v8, 0, 1, vcc
	v_lshlrev_b32_e32 v12, v12, v19
	v_cmp_ne_u32_e32 vcc, v10, v14
	v_cndmask_b32_e64 v10, 0, 1, vcc
	v_cmp_ne_u32_e32 vcc, v12, v16
	v_cndmask_b32_e64 v12, 0, 1, vcc
	v_or_b32_e32 v10, v18, v10
	v_cmp_gt_i32_e32 vcc, 1, v11
	v_cndmask_b32_e32 v10, v15, v10, vcc
	v_or_b32_e32 v12, v19, v12
	v_cmp_gt_i32_e32 vcc, 1, v13
	v_and_b32_e32 v14, 7, v10
	v_cndmask_b32_e32 v12, v17, v12, vcc
	v_cmp_lt_i32_e32 vcc, 5, v14
	v_cmp_eq_u32_e64 s[0:1], 3, v14
	v_lshrrev_b32_e32 v10, 2, v10
	v_and_b32_e32 v15, 7, v12
	s_or_b64 vcc, s[0:1], vcc
	v_cmp_lt_i32_e64 s[2:3], 5, v15
	v_cmp_eq_u32_e64 s[4:5], 3, v15
	v_addc_co_u32_e32 v10, vcc, 0, v10, vcc
	v_lshrrev_b32_e32 v12, 2, v12
	s_or_b64 vcc, s[4:5], s[2:3]
	v_addc_co_u32_e32 v12, vcc, 0, v12, vcc
	v_cmp_gt_i32_e32 vcc, 31, v11
	v_cndmask_b32_e32 v10, v0, v10, vcc
	v_cmp_gt_i32_e32 vcc, 31, v13
	v_lshl_or_b32 v6, v6, 9, v0
	v_cndmask_b32_e32 v12, v0, v12, vcc
	v_cmp_eq_u32_e32 vcc, s18, v11
	v_lshrrev_b32_e32 v7, 16, v7
	v_lshl_or_b32 v8, v8, 9, v0
	v_cndmask_b32_e32 v6, v10, v6, vcc
	v_cmp_eq_u32_e32 vcc, s18, v13
	v_lshrrev_b32_e32 v9, 16, v9
	v_cndmask_b32_e32 v8, v12, v8, vcc
	v_and_or_b32 v6, v7, s17, v6
	v_and_or_b32 v7, v9, s17, v8
	v_and_b32_e32 v6, 0xffff, v6
	v_lshl_or_b32 v6, v7, 16, v6
	global_store_dword v[4:5], v6, off
	global_load_dword v8, v30, s[6:7] offset:1144
	ds_read2_b32 v[6:7], v3 offset0:30 offset1:56
	v_add_co_u32_e32 v4, vcc, s11, v4
	s_waitcnt lgkmcnt(0)
	v_lshrrev_b32_e32 v9, 16, v6
	s_waitcnt vmcnt(0)
	v_mul_f16_sdwa v10, v9, v8 dst_sel:DWORD dst_unused:UNUSED_PAD src0_sel:DWORD src1_sel:WORD_1
	v_fma_f16 v10, v6, v8, v10
	v_mul_f16_sdwa v6, v6, v8 dst_sel:DWORD dst_unused:UNUSED_PAD src0_sel:DWORD src1_sel:WORD_1
	v_cvt_f32_f16_e32 v10, v10
	v_fma_f16 v6, v8, v9, -v6
	v_cvt_f32_f16_e32 v6, v6
	v_cvt_f64_f32_e32 v[8:9], v10
	v_cvt_f64_f32_e32 v[10:11], v6
	v_mov_b32_e32 v6, s12
	v_mul_f64 v[8:9], v[8:9], s[14:15]
	v_addc_co_u32_e32 v5, vcc, v5, v6, vcc
	v_mul_f64 v[10:11], v[10:11], s[14:15]
	v_and_or_b32 v6, v9, s16, v8
	v_cmp_ne_u32_e32 vcc, 0, v6
	v_lshrrev_b32_e32 v8, 8, v9
	v_and_or_b32 v10, v11, s16, v10
	v_bfe_u32 v12, v9, 20, 11
	v_cndmask_b32_e64 v6, 0, 1, vcc
	v_cmp_ne_u32_e32 vcc, 0, v10
	v_lshrrev_b32_e32 v13, 8, v11
	v_bfe_u32 v14, v11, 20, 11
	v_sub_u32_e32 v15, 0x3f1, v12
	v_cndmask_b32_e64 v10, 0, 1, vcc
	v_and_or_b32 v6, v8, s10, v6
	v_sub_u32_e32 v16, 0x3f1, v14
	v_med3_i32 v8, v15, 0, 13
	v_and_or_b32 v10, v13, s10, v10
	v_or_b32_e32 v15, 0x1000, v6
	v_add_u32_e32 v12, 0xfffffc10, v12
	v_med3_i32 v13, v16, 0, 13
	v_cmp_ne_u32_e32 vcc, 0, v6
	v_or_b32_e32 v17, 0x1000, v10
	v_lshrrev_b32_e32 v19, v8, v15
	v_add_u32_e32 v14, 0xfffffc10, v14
	v_lshl_or_b32 v16, v12, 12, v6
	v_cndmask_b32_e64 v6, 0, 1, vcc
	v_cmp_ne_u32_e32 vcc, 0, v10
	v_lshrrev_b32_e32 v20, v13, v17
	v_lshlrev_b32_e32 v8, v8, v19
	v_lshl_or_b32 v18, v14, 12, v10
	v_cndmask_b32_e64 v10, 0, 1, vcc
	v_lshlrev_b32_e32 v13, v13, v20
	v_cmp_ne_u32_e32 vcc, v8, v15
	v_cndmask_b32_e64 v8, 0, 1, vcc
	v_cmp_ne_u32_e32 vcc, v13, v17
	v_cndmask_b32_e64 v13, 0, 1, vcc
	v_or_b32_e32 v8, v19, v8
	v_cmp_gt_i32_e32 vcc, 1, v12
	v_cndmask_b32_e32 v8, v16, v8, vcc
	v_or_b32_e32 v13, v20, v13
	v_cmp_gt_i32_e32 vcc, 1, v14
	v_and_b32_e32 v15, 7, v8
	v_cndmask_b32_e32 v13, v18, v13, vcc
	v_cmp_lt_i32_e32 vcc, 5, v15
	v_cmp_eq_u32_e64 s[0:1], 3, v15
	v_lshrrev_b32_e32 v8, 2, v8
	v_and_b32_e32 v16, 7, v13
	s_or_b64 vcc, s[0:1], vcc
	v_cmp_lt_i32_e64 s[2:3], 5, v16
	v_cmp_eq_u32_e64 s[4:5], 3, v16
	v_addc_co_u32_e32 v8, vcc, 0, v8, vcc
	v_lshrrev_b32_e32 v13, 2, v13
	s_or_b64 vcc, s[4:5], s[2:3]
	v_addc_co_u32_e32 v13, vcc, 0, v13, vcc
	v_cmp_gt_i32_e32 vcc, 31, v12
	v_cndmask_b32_e32 v8, v0, v8, vcc
	v_cmp_gt_i32_e32 vcc, 31, v14
	v_lshl_or_b32 v6, v6, 9, v0
	v_cndmask_b32_e32 v13, v0, v13, vcc
	v_cmp_eq_u32_e32 vcc, s18, v12
	v_lshrrev_b32_e32 v9, 16, v9
	v_lshl_or_b32 v10, v10, 9, v0
	v_cndmask_b32_e32 v6, v8, v6, vcc
	v_cmp_eq_u32_e32 vcc, s18, v14
	v_lshrrev_b32_e32 v11, 16, v11
	v_cndmask_b32_e32 v8, v13, v10, vcc
	v_and_or_b32 v6, v9, s17, v6
	v_and_or_b32 v8, v11, s17, v8
	v_and_b32_e32 v6, 0xffff, v6
	v_lshl_or_b32 v6, v8, 16, v6
	global_store_dword v[4:5], v6, off
	global_load_dword v6, v30, s[6:7] offset:1248
	v_lshrrev_b32_e32 v8, 16, v7
	v_mov_b32_e32 v10, s12
	v_add_co_u32_e32 v4, vcc, s11, v4
	v_addc_co_u32_e32 v5, vcc, v5, v10, vcc
	s_waitcnt vmcnt(0)
	v_mul_f16_sdwa v9, v8, v6 dst_sel:DWORD dst_unused:UNUSED_PAD src0_sel:DWORD src1_sel:WORD_1
	v_fma_f16 v9, v7, v6, v9
	v_mul_f16_sdwa v7, v7, v6 dst_sel:DWORD dst_unused:UNUSED_PAD src0_sel:DWORD src1_sel:WORD_1
	v_cvt_f32_f16_e32 v9, v9
	v_fma_f16 v6, v6, v8, -v7
	v_cvt_f32_f16_e32 v8, v6
	v_cvt_f64_f32_e32 v[6:7], v9
	v_cvt_f64_f32_e32 v[8:9], v8
	v_mul_f64 v[6:7], v[6:7], s[14:15]
	v_mul_f64 v[8:9], v[8:9], s[14:15]
	v_and_or_b32 v6, v7, s16, v6
	v_cmp_ne_u32_e32 vcc, 0, v6
	v_and_or_b32 v8, v9, s16, v8
	v_lshrrev_b32_e32 v10, 8, v7
	v_bfe_u32 v11, v7, 20, 11
	v_cndmask_b32_e64 v6, 0, 1, vcc
	v_cmp_ne_u32_e32 vcc, 0, v8
	v_lshrrev_b32_e32 v12, 8, v9
	v_bfe_u32 v13, v9, 20, 11
	v_sub_u32_e32 v14, 0x3f1, v11
	v_cndmask_b32_e64 v8, 0, 1, vcc
	v_and_or_b32 v6, v10, s10, v6
	v_sub_u32_e32 v15, 0x3f1, v13
	v_med3_i32 v10, v14, 0, 13
	v_and_or_b32 v8, v12, s10, v8
	v_or_b32_e32 v14, 0x1000, v6
	v_add_u32_e32 v11, 0xfffffc10, v11
	v_med3_i32 v12, v15, 0, 13
	v_cmp_ne_u32_e32 vcc, 0, v6
	v_or_b32_e32 v16, 0x1000, v8
	v_lshrrev_b32_e32 v18, v10, v14
	v_add_u32_e32 v13, 0xfffffc10, v13
	v_lshl_or_b32 v15, v11, 12, v6
	v_cndmask_b32_e64 v6, 0, 1, vcc
	v_cmp_ne_u32_e32 vcc, 0, v8
	v_lshrrev_b32_e32 v19, v12, v16
	v_lshlrev_b32_e32 v10, v10, v18
	v_lshl_or_b32 v17, v13, 12, v8
	v_cndmask_b32_e64 v8, 0, 1, vcc
	v_lshlrev_b32_e32 v12, v12, v19
	v_cmp_ne_u32_e32 vcc, v10, v14
	v_cndmask_b32_e64 v10, 0, 1, vcc
	v_cmp_ne_u32_e32 vcc, v12, v16
	v_cndmask_b32_e64 v12, 0, 1, vcc
	v_or_b32_e32 v10, v18, v10
	v_cmp_gt_i32_e32 vcc, 1, v11
	v_cndmask_b32_e32 v10, v15, v10, vcc
	v_or_b32_e32 v12, v19, v12
	v_cmp_gt_i32_e32 vcc, 1, v13
	v_and_b32_e32 v14, 7, v10
	v_cndmask_b32_e32 v12, v17, v12, vcc
	v_cmp_lt_i32_e32 vcc, 5, v14
	v_cmp_eq_u32_e64 s[0:1], 3, v14
	v_lshrrev_b32_e32 v10, 2, v10
	v_and_b32_e32 v15, 7, v12
	s_or_b64 vcc, s[0:1], vcc
	v_cmp_lt_i32_e64 s[2:3], 5, v15
	v_cmp_eq_u32_e64 s[4:5], 3, v15
	v_addc_co_u32_e32 v10, vcc, 0, v10, vcc
	v_lshrrev_b32_e32 v12, 2, v12
	s_or_b64 vcc, s[4:5], s[2:3]
	v_addc_co_u32_e32 v12, vcc, 0, v12, vcc
	v_cmp_gt_i32_e32 vcc, 31, v11
	v_cndmask_b32_e32 v10, v0, v10, vcc
	v_cmp_gt_i32_e32 vcc, 31, v13
	v_lshl_or_b32 v6, v6, 9, v0
	v_cndmask_b32_e32 v12, v0, v12, vcc
	v_cmp_eq_u32_e32 vcc, s18, v11
	v_lshrrev_b32_e32 v7, 16, v7
	v_lshl_or_b32 v8, v8, 9, v0
	v_cndmask_b32_e32 v6, v10, v6, vcc
	v_cmp_eq_u32_e32 vcc, s18, v13
	v_lshrrev_b32_e32 v9, 16, v9
	v_cndmask_b32_e32 v8, v12, v8, vcc
	v_and_or_b32 v6, v7, s17, v6
	v_and_or_b32 v7, v9, s17, v8
	v_and_b32_e32 v6, 0xffff, v6
	v_lshl_or_b32 v6, v7, 16, v6
	global_store_dword v[4:5], v6, off
	global_load_dword v8, v30, s[6:7] offset:1352
	ds_read2_b32 v[6:7], v3 offset0:82 offset1:108
	v_add_co_u32_e32 v4, vcc, s11, v4
	s_waitcnt lgkmcnt(0)
	v_lshrrev_b32_e32 v9, 16, v6
	s_waitcnt vmcnt(0)
	v_mul_f16_sdwa v10, v9, v8 dst_sel:DWORD dst_unused:UNUSED_PAD src0_sel:DWORD src1_sel:WORD_1
	v_fma_f16 v10, v6, v8, v10
	v_mul_f16_sdwa v6, v6, v8 dst_sel:DWORD dst_unused:UNUSED_PAD src0_sel:DWORD src1_sel:WORD_1
	v_cvt_f32_f16_e32 v10, v10
	v_fma_f16 v6, v8, v9, -v6
	v_cvt_f32_f16_e32 v6, v6
	v_cvt_f64_f32_e32 v[8:9], v10
	v_cvt_f64_f32_e32 v[10:11], v6
	v_mov_b32_e32 v6, s12
	v_mul_f64 v[8:9], v[8:9], s[14:15]
	v_addc_co_u32_e32 v5, vcc, v5, v6, vcc
	v_mul_f64 v[10:11], v[10:11], s[14:15]
	v_and_or_b32 v6, v9, s16, v8
	v_cmp_ne_u32_e32 vcc, 0, v6
	v_lshrrev_b32_e32 v8, 8, v9
	v_and_or_b32 v10, v11, s16, v10
	v_bfe_u32 v12, v9, 20, 11
	v_cndmask_b32_e64 v6, 0, 1, vcc
	v_cmp_ne_u32_e32 vcc, 0, v10
	v_lshrrev_b32_e32 v13, 8, v11
	v_bfe_u32 v14, v11, 20, 11
	v_sub_u32_e32 v15, 0x3f1, v12
	v_cndmask_b32_e64 v10, 0, 1, vcc
	v_and_or_b32 v6, v8, s10, v6
	v_sub_u32_e32 v16, 0x3f1, v14
	v_med3_i32 v8, v15, 0, 13
	v_and_or_b32 v10, v13, s10, v10
	v_or_b32_e32 v15, 0x1000, v6
	v_add_u32_e32 v12, 0xfffffc10, v12
	v_med3_i32 v13, v16, 0, 13
	v_cmp_ne_u32_e32 vcc, 0, v6
	v_or_b32_e32 v17, 0x1000, v10
	v_lshrrev_b32_e32 v19, v8, v15
	v_add_u32_e32 v14, 0xfffffc10, v14
	v_lshl_or_b32 v16, v12, 12, v6
	v_cndmask_b32_e64 v6, 0, 1, vcc
	v_cmp_ne_u32_e32 vcc, 0, v10
	v_lshrrev_b32_e32 v20, v13, v17
	v_lshlrev_b32_e32 v8, v8, v19
	v_lshl_or_b32 v18, v14, 12, v10
	v_cndmask_b32_e64 v10, 0, 1, vcc
	v_lshlrev_b32_e32 v13, v13, v20
	v_cmp_ne_u32_e32 vcc, v8, v15
	v_cndmask_b32_e64 v8, 0, 1, vcc
	v_cmp_ne_u32_e32 vcc, v13, v17
	v_cndmask_b32_e64 v13, 0, 1, vcc
	v_or_b32_e32 v8, v19, v8
	v_cmp_gt_i32_e32 vcc, 1, v12
	v_cndmask_b32_e32 v8, v16, v8, vcc
	v_or_b32_e32 v13, v20, v13
	v_cmp_gt_i32_e32 vcc, 1, v14
	v_and_b32_e32 v15, 7, v8
	v_cndmask_b32_e32 v13, v18, v13, vcc
	v_cmp_lt_i32_e32 vcc, 5, v15
	v_cmp_eq_u32_e64 s[0:1], 3, v15
	v_lshrrev_b32_e32 v8, 2, v8
	v_and_b32_e32 v16, 7, v13
	s_or_b64 vcc, s[0:1], vcc
	v_cmp_lt_i32_e64 s[2:3], 5, v16
	v_cmp_eq_u32_e64 s[4:5], 3, v16
	v_addc_co_u32_e32 v8, vcc, 0, v8, vcc
	v_lshrrev_b32_e32 v13, 2, v13
	s_or_b64 vcc, s[4:5], s[2:3]
	v_addc_co_u32_e32 v13, vcc, 0, v13, vcc
	v_cmp_gt_i32_e32 vcc, 31, v12
	v_cndmask_b32_e32 v8, v0, v8, vcc
	v_cmp_gt_i32_e32 vcc, 31, v14
	v_lshl_or_b32 v6, v6, 9, v0
	v_cndmask_b32_e32 v13, v0, v13, vcc
	v_cmp_eq_u32_e32 vcc, s18, v12
	v_lshrrev_b32_e32 v9, 16, v9
	v_lshl_or_b32 v10, v10, 9, v0
	v_cndmask_b32_e32 v6, v8, v6, vcc
	v_cmp_eq_u32_e32 vcc, s18, v14
	v_lshrrev_b32_e32 v11, 16, v11
	v_cndmask_b32_e32 v8, v13, v10, vcc
	v_and_or_b32 v6, v9, s17, v6
	v_and_or_b32 v8, v11, s17, v8
	v_and_b32_e32 v6, 0xffff, v6
	v_lshl_or_b32 v6, v8, 16, v6
	global_store_dword v[4:5], v6, off
	global_load_dword v6, v30, s[6:7] offset:1456
	v_lshrrev_b32_e32 v8, 16, v7
	v_mov_b32_e32 v10, s12
	v_add_co_u32_e32 v4, vcc, s11, v4
	v_addc_co_u32_e32 v5, vcc, v5, v10, vcc
	s_waitcnt vmcnt(0)
	v_mul_f16_sdwa v9, v8, v6 dst_sel:DWORD dst_unused:UNUSED_PAD src0_sel:DWORD src1_sel:WORD_1
	v_fma_f16 v9, v7, v6, v9
	v_mul_f16_sdwa v7, v7, v6 dst_sel:DWORD dst_unused:UNUSED_PAD src0_sel:DWORD src1_sel:WORD_1
	v_cvt_f32_f16_e32 v9, v9
	v_fma_f16 v6, v6, v8, -v7
	v_cvt_f32_f16_e32 v8, v6
	v_cvt_f64_f32_e32 v[6:7], v9
	v_cvt_f64_f32_e32 v[8:9], v8
	v_mul_f64 v[6:7], v[6:7], s[14:15]
	v_mul_f64 v[8:9], v[8:9], s[14:15]
	v_and_or_b32 v6, v7, s16, v6
	v_cmp_ne_u32_e32 vcc, 0, v6
	v_and_or_b32 v8, v9, s16, v8
	v_lshrrev_b32_e32 v10, 8, v7
	v_bfe_u32 v11, v7, 20, 11
	v_cndmask_b32_e64 v6, 0, 1, vcc
	v_cmp_ne_u32_e32 vcc, 0, v8
	v_lshrrev_b32_e32 v12, 8, v9
	v_bfe_u32 v13, v9, 20, 11
	v_sub_u32_e32 v14, 0x3f1, v11
	v_cndmask_b32_e64 v8, 0, 1, vcc
	v_and_or_b32 v6, v10, s10, v6
	v_sub_u32_e32 v15, 0x3f1, v13
	v_med3_i32 v10, v14, 0, 13
	v_and_or_b32 v8, v12, s10, v8
	v_or_b32_e32 v14, 0x1000, v6
	v_add_u32_e32 v11, 0xfffffc10, v11
	v_med3_i32 v12, v15, 0, 13
	v_cmp_ne_u32_e32 vcc, 0, v6
	v_or_b32_e32 v16, 0x1000, v8
	v_lshrrev_b32_e32 v18, v10, v14
	v_add_u32_e32 v13, 0xfffffc10, v13
	v_lshl_or_b32 v15, v11, 12, v6
	v_cndmask_b32_e64 v6, 0, 1, vcc
	v_cmp_ne_u32_e32 vcc, 0, v8
	v_lshrrev_b32_e32 v19, v12, v16
	v_lshlrev_b32_e32 v10, v10, v18
	v_lshl_or_b32 v17, v13, 12, v8
	v_cndmask_b32_e64 v8, 0, 1, vcc
	v_lshlrev_b32_e32 v12, v12, v19
	v_cmp_ne_u32_e32 vcc, v10, v14
	v_cndmask_b32_e64 v10, 0, 1, vcc
	v_cmp_ne_u32_e32 vcc, v12, v16
	v_cndmask_b32_e64 v12, 0, 1, vcc
	v_or_b32_e32 v10, v18, v10
	v_cmp_gt_i32_e32 vcc, 1, v11
	v_cndmask_b32_e32 v10, v15, v10, vcc
	v_or_b32_e32 v12, v19, v12
	v_cmp_gt_i32_e32 vcc, 1, v13
	v_and_b32_e32 v14, 7, v10
	v_cndmask_b32_e32 v12, v17, v12, vcc
	v_cmp_lt_i32_e32 vcc, 5, v14
	v_cmp_eq_u32_e64 s[0:1], 3, v14
	v_lshrrev_b32_e32 v10, 2, v10
	v_and_b32_e32 v15, 7, v12
	s_or_b64 vcc, s[0:1], vcc
	v_cmp_lt_i32_e64 s[2:3], 5, v15
	v_cmp_eq_u32_e64 s[4:5], 3, v15
	v_addc_co_u32_e32 v10, vcc, 0, v10, vcc
	v_lshrrev_b32_e32 v12, 2, v12
	s_or_b64 vcc, s[4:5], s[2:3]
	v_addc_co_u32_e32 v12, vcc, 0, v12, vcc
	v_cmp_gt_i32_e32 vcc, 31, v11
	v_cndmask_b32_e32 v10, v0, v10, vcc
	v_cmp_gt_i32_e32 vcc, 31, v13
	v_lshl_or_b32 v6, v6, 9, v0
	v_cndmask_b32_e32 v12, v0, v12, vcc
	v_cmp_eq_u32_e32 vcc, s18, v11
	v_lshrrev_b32_e32 v7, 16, v7
	v_lshl_or_b32 v8, v8, 9, v0
	v_cndmask_b32_e32 v6, v10, v6, vcc
	v_cmp_eq_u32_e32 vcc, s18, v13
	v_lshrrev_b32_e32 v9, 16, v9
	v_cndmask_b32_e32 v8, v12, v8, vcc
	v_and_or_b32 v6, v7, s17, v6
	v_and_or_b32 v7, v9, s17, v8
	v_and_b32_e32 v6, 0xffff, v6
	v_lshl_or_b32 v6, v7, 16, v6
	global_store_dword v[4:5], v6, off
	global_load_dword v8, v30, s[6:7] offset:1560
	ds_read2_b32 v[6:7], v3 offset0:134 offset1:160
	s_waitcnt lgkmcnt(0)
	v_lshrrev_b32_e32 v3, 16, v6
	s_waitcnt vmcnt(0)
	v_mul_f16_sdwa v9, v3, v8 dst_sel:DWORD dst_unused:UNUSED_PAD src0_sel:DWORD src1_sel:WORD_1
	v_fma_f16 v9, v6, v8, v9
	v_mul_f16_sdwa v6, v6, v8 dst_sel:DWORD dst_unused:UNUSED_PAD src0_sel:DWORD src1_sel:WORD_1
	v_cvt_f32_f16_e32 v9, v9
	v_fma_f16 v3, v8, v3, -v6
	v_cvt_f32_f16_e32 v3, v3
	v_mov_b32_e32 v6, s12
	v_cvt_f64_f32_e32 v[8:9], v9
	v_cvt_f64_f32_e32 v[10:11], v3
	v_add_co_u32_e32 v3, vcc, s11, v4
	v_mul_f64 v[8:9], v[8:9], s[14:15]
	v_mul_f64 v[10:11], v[10:11], s[14:15]
	v_addc_co_u32_e32 v4, vcc, v5, v6, vcc
	v_and_or_b32 v5, v9, s16, v8
	v_and_or_b32 v10, v11, s16, v10
	v_cmp_ne_u32_e32 vcc, 0, v5
	v_lshrrev_b32_e32 v6, 8, v9
	v_bfe_u32 v8, v9, 20, 11
	v_cndmask_b32_e64 v5, 0, 1, vcc
	v_cmp_ne_u32_e32 vcc, 0, v10
	v_lshrrev_b32_e32 v12, 8, v11
	v_bfe_u32 v13, v11, 20, 11
	v_sub_u32_e32 v14, 0x3f1, v8
	v_cndmask_b32_e64 v10, 0, 1, vcc
	v_and_or_b32 v5, v6, s10, v5
	v_sub_u32_e32 v15, 0x3f1, v13
	v_med3_i32 v6, v14, 0, 13
	v_and_or_b32 v10, v12, s10, v10
	v_or_b32_e32 v14, 0x1000, v5
	v_add_u32_e32 v8, 0xfffffc10, v8
	v_med3_i32 v12, v15, 0, 13
	v_cmp_ne_u32_e32 vcc, 0, v5
	v_or_b32_e32 v16, 0x1000, v10
	v_lshrrev_b32_e32 v18, v6, v14
	v_add_u32_e32 v13, 0xfffffc10, v13
	v_lshl_or_b32 v15, v8, 12, v5
	v_cndmask_b32_e64 v5, 0, 1, vcc
	v_cmp_ne_u32_e32 vcc, 0, v10
	v_lshrrev_b32_e32 v19, v12, v16
	v_lshlrev_b32_e32 v6, v6, v18
	v_lshl_or_b32 v17, v13, 12, v10
	v_cndmask_b32_e64 v10, 0, 1, vcc
	v_lshlrev_b32_e32 v12, v12, v19
	v_cmp_ne_u32_e32 vcc, v6, v14
	v_cndmask_b32_e64 v6, 0, 1, vcc
	v_cmp_ne_u32_e32 vcc, v12, v16
	v_cndmask_b32_e64 v12, 0, 1, vcc
	v_or_b32_e32 v6, v18, v6
	v_cmp_gt_i32_e32 vcc, 1, v8
	v_cndmask_b32_e32 v6, v15, v6, vcc
	v_or_b32_e32 v12, v19, v12
	v_cmp_gt_i32_e32 vcc, 1, v13
	v_and_b32_e32 v14, 7, v6
	v_cndmask_b32_e32 v12, v17, v12, vcc
	v_cmp_lt_i32_e32 vcc, 5, v14
	v_cmp_eq_u32_e64 s[0:1], 3, v14
	v_lshrrev_b32_e32 v6, 2, v6
	v_and_b32_e32 v15, 7, v12
	s_or_b64 vcc, s[0:1], vcc
	v_cmp_lt_i32_e64 s[2:3], 5, v15
	v_cmp_eq_u32_e64 s[4:5], 3, v15
	v_addc_co_u32_e32 v6, vcc, 0, v6, vcc
	v_lshrrev_b32_e32 v12, 2, v12
	s_or_b64 vcc, s[4:5], s[2:3]
	v_addc_co_u32_e32 v12, vcc, 0, v12, vcc
	v_cmp_gt_i32_e32 vcc, 31, v8
	v_cndmask_b32_e32 v6, v0, v6, vcc
	v_cmp_gt_i32_e32 vcc, 31, v13
	v_lshl_or_b32 v5, v5, 9, v0
	v_cndmask_b32_e32 v12, v0, v12, vcc
	v_cmp_eq_u32_e32 vcc, s18, v8
	v_lshrrev_b32_e32 v9, 16, v9
	v_lshl_or_b32 v10, v10, 9, v0
	v_cndmask_b32_e32 v5, v6, v5, vcc
	v_cmp_eq_u32_e32 vcc, s18, v13
	v_lshrrev_b32_e32 v11, 16, v11
	v_cndmask_b32_e32 v6, v12, v10, vcc
	v_and_or_b32 v5, v9, s17, v5
	v_and_or_b32 v6, v11, s17, v6
	v_and_b32_e32 v5, 0xffff, v5
	v_lshl_or_b32 v5, v6, 16, v5
	global_store_dword v[3:4], v5, off
	global_load_dword v5, v30, s[6:7] offset:1664
	v_lshrrev_b32_e32 v6, 16, v7
	v_or_b32_e32 v9, 0x1a0, v29
	v_mad_u64_u32 v[3:4], s[0:1], s8, v9, 0
	s_waitcnt vmcnt(0)
	v_mul_f16_sdwa v8, v6, v5 dst_sel:DWORD dst_unused:UNUSED_PAD src0_sel:DWORD src1_sel:WORD_1
	v_fma_f16 v8, v7, v5, v8
	v_cvt_f32_f16_e32 v8, v8
	v_mul_f16_sdwa v7, v7, v5 dst_sel:DWORD dst_unused:UNUSED_PAD src0_sel:DWORD src1_sel:WORD_1
	v_fma_f16 v5, v5, v6, -v7
	v_cvt_f32_f16_e32 v7, v5
	v_cvt_f64_f32_e32 v[5:6], v8
	v_cvt_f64_f32_e32 v[7:8], v7
	v_mul_f64 v[5:6], v[5:6], s[14:15]
	v_mul_f64 v[7:8], v[7:8], s[14:15]
	v_mad_u64_u32 v[9:10], s[0:1], s9, v9, v[4:5]
	v_and_or_b32 v5, v6, s16, v5
	v_and_or_b32 v7, v8, s16, v7
	v_cmp_ne_u32_e32 vcc, 0, v5
	v_mov_b32_e32 v4, v9
	v_lshrrev_b32_e32 v9, 8, v6
	v_bfe_u32 v10, v6, 20, 11
	v_cndmask_b32_e64 v5, 0, 1, vcc
	v_cmp_ne_u32_e32 vcc, 0, v7
	v_lshrrev_b32_e32 v11, 8, v8
	v_bfe_u32 v12, v8, 20, 11
	v_sub_u32_e32 v13, 0x3f1, v10
	v_cndmask_b32_e64 v7, 0, 1, vcc
	v_and_or_b32 v5, v9, s10, v5
	v_sub_u32_e32 v14, 0x3f1, v12
	v_med3_i32 v9, v13, 0, 13
	v_and_or_b32 v7, v11, s10, v7
	v_or_b32_e32 v13, 0x1000, v5
	v_add_u32_e32 v10, 0xfffffc10, v10
	v_med3_i32 v11, v14, 0, 13
	v_cmp_ne_u32_e32 vcc, 0, v5
	v_or_b32_e32 v15, 0x1000, v7
	v_lshrrev_b32_e32 v17, v9, v13
	v_add_u32_e32 v12, 0xfffffc10, v12
	v_lshl_or_b32 v14, v10, 12, v5
	v_cndmask_b32_e64 v5, 0, 1, vcc
	v_cmp_ne_u32_e32 vcc, 0, v7
	v_lshrrev_b32_e32 v18, v11, v15
	v_lshlrev_b32_e32 v9, v9, v17
	v_lshl_or_b32 v16, v12, 12, v7
	v_cndmask_b32_e64 v7, 0, 1, vcc
	v_lshlrev_b32_e32 v11, v11, v18
	v_cmp_ne_u32_e32 vcc, v9, v13
	v_cndmask_b32_e64 v9, 0, 1, vcc
	v_cmp_ne_u32_e32 vcc, v11, v15
	v_cndmask_b32_e64 v11, 0, 1, vcc
	v_or_b32_e32 v9, v17, v9
	v_cmp_gt_i32_e32 vcc, 1, v10
	v_cndmask_b32_e32 v9, v14, v9, vcc
	v_or_b32_e32 v11, v18, v11
	v_cmp_gt_i32_e32 vcc, 1, v12
	v_and_b32_e32 v13, 7, v9
	v_cndmask_b32_e32 v11, v16, v11, vcc
	v_cmp_lt_i32_e32 vcc, 5, v13
	v_cmp_eq_u32_e64 s[0:1], 3, v13
	v_lshrrev_b32_e32 v9, 2, v9
	v_and_b32_e32 v14, 7, v11
	s_or_b64 vcc, s[0:1], vcc
	v_cmp_lt_i32_e64 s[2:3], 5, v14
	v_cmp_eq_u32_e64 s[4:5], 3, v14
	v_addc_co_u32_e32 v9, vcc, 0, v9, vcc
	v_lshrrev_b32_e32 v11, 2, v11
	s_or_b64 vcc, s[4:5], s[2:3]
	v_addc_co_u32_e32 v11, vcc, 0, v11, vcc
	v_cmp_gt_i32_e32 vcc, 31, v10
	v_cndmask_b32_e32 v9, v0, v9, vcc
	v_cmp_gt_i32_e32 vcc, 31, v12
	v_lshl_or_b32 v5, v5, 9, v0
	v_lshl_or_b32 v7, v7, 9, v0
	v_cndmask_b32_e32 v0, v0, v11, vcc
	v_cmp_eq_u32_e32 vcc, s18, v10
	v_lshrrev_b32_e32 v6, 16, v6
	v_cndmask_b32_e32 v5, v9, v5, vcc
	v_cmp_eq_u32_e32 vcc, s18, v12
	v_lshlrev_b64 v[3:4], 2, v[3:4]
	v_lshrrev_b32_e32 v8, 16, v8
	v_cndmask_b32_e32 v0, v0, v7, vcc
	v_and_or_b32 v5, v6, s17, v5
	v_and_or_b32 v0, v8, s17, v0
	v_and_b32_e32 v5, 0xffff, v5
	v_lshl_or_b32 v5, v0, 16, v5
	v_add_co_u32_e32 v0, vcc, v1, v3
	v_addc_co_u32_e32 v1, vcc, v2, v4, vcc
	global_store_dword v[0:1], v5, off
.LBB0_23:
	s_endpgm
	.section	.rodata,"a",@progbits
	.p2align	6, 0x0
	.amdhsa_kernel bluestein_single_back_len442_dim1_half_op_CI_CI
		.amdhsa_group_segment_fixed_size 12376
		.amdhsa_private_segment_fixed_size 0
		.amdhsa_kernarg_size 104
		.amdhsa_user_sgpr_count 6
		.amdhsa_user_sgpr_private_segment_buffer 1
		.amdhsa_user_sgpr_dispatch_ptr 0
		.amdhsa_user_sgpr_queue_ptr 0
		.amdhsa_user_sgpr_kernarg_segment_ptr 1
		.amdhsa_user_sgpr_dispatch_id 0
		.amdhsa_user_sgpr_flat_scratch_init 0
		.amdhsa_user_sgpr_private_segment_size 0
		.amdhsa_uses_dynamic_stack 0
		.amdhsa_system_sgpr_private_segment_wavefront_offset 0
		.amdhsa_system_sgpr_workgroup_id_x 1
		.amdhsa_system_sgpr_workgroup_id_y 0
		.amdhsa_system_sgpr_workgroup_id_z 0
		.amdhsa_system_sgpr_workgroup_info 0
		.amdhsa_system_vgpr_workitem_id 0
		.amdhsa_next_free_vgpr 232
		.amdhsa_next_free_sgpr 46
		.amdhsa_reserve_vcc 1
		.amdhsa_reserve_flat_scratch 0
		.amdhsa_float_round_mode_32 0
		.amdhsa_float_round_mode_16_64 0
		.amdhsa_float_denorm_mode_32 3
		.amdhsa_float_denorm_mode_16_64 3
		.amdhsa_dx10_clamp 1
		.amdhsa_ieee_mode 1
		.amdhsa_fp16_overflow 0
		.amdhsa_exception_fp_ieee_invalid_op 0
		.amdhsa_exception_fp_denorm_src 0
		.amdhsa_exception_fp_ieee_div_zero 0
		.amdhsa_exception_fp_ieee_overflow 0
		.amdhsa_exception_fp_ieee_underflow 0
		.amdhsa_exception_fp_ieee_inexact 0
		.amdhsa_exception_int_div_zero 0
	.end_amdhsa_kernel
	.text
.Lfunc_end0:
	.size	bluestein_single_back_len442_dim1_half_op_CI_CI, .Lfunc_end0-bluestein_single_back_len442_dim1_half_op_CI_CI
                                        ; -- End function
	.section	.AMDGPU.csdata,"",@progbits
; Kernel info:
; codeLenInByte = 30632
; NumSgprs: 50
; NumVgprs: 232
; ScratchSize: 0
; MemoryBound: 0
; FloatMode: 240
; IeeeMode: 1
; LDSByteSize: 12376 bytes/workgroup (compile time only)
; SGPRBlocks: 6
; VGPRBlocks: 57
; NumSGPRsForWavesPerEU: 50
; NumVGPRsForWavesPerEU: 232
; Occupancy: 1
; WaveLimiterHint : 1
; COMPUTE_PGM_RSRC2:SCRATCH_EN: 0
; COMPUTE_PGM_RSRC2:USER_SGPR: 6
; COMPUTE_PGM_RSRC2:TRAP_HANDLER: 0
; COMPUTE_PGM_RSRC2:TGID_X_EN: 1
; COMPUTE_PGM_RSRC2:TGID_Y_EN: 0
; COMPUTE_PGM_RSRC2:TGID_Z_EN: 0
; COMPUTE_PGM_RSRC2:TIDIG_COMP_CNT: 0
	.type	__hip_cuid_c6327ac119a9d9b6,@object ; @__hip_cuid_c6327ac119a9d9b6
	.section	.bss,"aw",@nobits
	.globl	__hip_cuid_c6327ac119a9d9b6
__hip_cuid_c6327ac119a9d9b6:
	.byte	0                               ; 0x0
	.size	__hip_cuid_c6327ac119a9d9b6, 1

	.ident	"AMD clang version 19.0.0git (https://github.com/RadeonOpenCompute/llvm-project roc-6.4.0 25133 c7fe45cf4b819c5991fe208aaa96edf142730f1d)"
	.section	".note.GNU-stack","",@progbits
	.addrsig
	.addrsig_sym __hip_cuid_c6327ac119a9d9b6
	.amdgpu_metadata
---
amdhsa.kernels:
  - .args:
      - .actual_access:  read_only
        .address_space:  global
        .offset:         0
        .size:           8
        .value_kind:     global_buffer
      - .actual_access:  read_only
        .address_space:  global
        .offset:         8
        .size:           8
        .value_kind:     global_buffer
      - .actual_access:  read_only
        .address_space:  global
        .offset:         16
        .size:           8
        .value_kind:     global_buffer
      - .actual_access:  read_only
        .address_space:  global
        .offset:         24
        .size:           8
        .value_kind:     global_buffer
      - .actual_access:  read_only
        .address_space:  global
        .offset:         32
        .size:           8
        .value_kind:     global_buffer
      - .offset:         40
        .size:           8
        .value_kind:     by_value
      - .address_space:  global
        .offset:         48
        .size:           8
        .value_kind:     global_buffer
      - .address_space:  global
        .offset:         56
        .size:           8
        .value_kind:     global_buffer
      - .address_space:  global
        .offset:         64
        .size:           8
        .value_kind:     global_buffer
      - .address_space:  global
        .offset:         72
        .size:           8
        .value_kind:     global_buffer
      - .offset:         80
        .size:           4
        .value_kind:     by_value
      - .address_space:  global
        .offset:         88
        .size:           8
        .value_kind:     global_buffer
      - .address_space:  global
        .offset:         96
        .size:           8
        .value_kind:     global_buffer
    .group_segment_fixed_size: 12376
    .kernarg_segment_align: 8
    .kernarg_segment_size: 104
    .language:       OpenCL C
    .language_version:
      - 2
      - 0
    .max_flat_workgroup_size: 238
    .name:           bluestein_single_back_len442_dim1_half_op_CI_CI
    .private_segment_fixed_size: 0
    .sgpr_count:     50
    .sgpr_spill_count: 0
    .symbol:         bluestein_single_back_len442_dim1_half_op_CI_CI.kd
    .uniform_work_group_size: 1
    .uses_dynamic_stack: false
    .vgpr_count:     232
    .vgpr_spill_count: 0
    .wavefront_size: 64
amdhsa.target:   amdgcn-amd-amdhsa--gfx906
amdhsa.version:
  - 1
  - 2
...

	.end_amdgpu_metadata
